;; amdgpu-corpus repo=ROCm/rocFFT kind=compiled arch=gfx1201 opt=O3
	.text
	.amdgcn_target "amdgcn-amd-amdhsa--gfx1201"
	.amdhsa_code_object_version 6
	.protected	fft_rtc_back_len2430_factors_10_3_3_3_3_3_wgs_81_tpt_81_halfLds_half_op_CI_CI_unitstride_sbrr_C2R_dirReg ; -- Begin function fft_rtc_back_len2430_factors_10_3_3_3_3_3_wgs_81_tpt_81_halfLds_half_op_CI_CI_unitstride_sbrr_C2R_dirReg
	.globl	fft_rtc_back_len2430_factors_10_3_3_3_3_3_wgs_81_tpt_81_halfLds_half_op_CI_CI_unitstride_sbrr_C2R_dirReg
	.p2align	8
	.type	fft_rtc_back_len2430_factors_10_3_3_3_3_3_wgs_81_tpt_81_halfLds_half_op_CI_CI_unitstride_sbrr_C2R_dirReg,@function
fft_rtc_back_len2430_factors_10_3_3_3_3_3_wgs_81_tpt_81_halfLds_half_op_CI_CI_unitstride_sbrr_C2R_dirReg: ; @fft_rtc_back_len2430_factors_10_3_3_3_3_3_wgs_81_tpt_81_halfLds_half_op_CI_CI_unitstride_sbrr_C2R_dirReg
; %bb.0:
	s_clause 0x2
	s_load_b128 s[8:11], s[0:1], 0x0
	s_load_b128 s[4:7], s[0:1], 0x58
	;; [unrolled: 1-line block ×3, first 2 shown]
	v_mul_u32_u24_e32 v1, 0x32a, v0
	v_mov_b32_e32 v7, 0
	v_mov_b32_e32 v8, 0
	s_delay_alu instid0(VALU_DEP_3) | instskip(SKIP_1) | instid1(VALU_DEP_1)
	v_lshrrev_b32_e32 v2, 16, v1
	v_mov_b32_e32 v1, 0
	v_dual_mov_b32 v10, v1 :: v_dual_add_nc_u32 v9, ttmp9, v2
	s_wait_kmcnt 0x0
	v_cmp_lt_u64_e64 s2, s[10:11], 2
	s_delay_alu instid0(VALU_DEP_1)
	s_and_b32 vcc_lo, exec_lo, s2
	s_cbranch_vccnz .LBB0_8
; %bb.1:
	s_load_b64 s[2:3], s[0:1], 0x10
	v_mov_b32_e32 v7, 0
	v_mov_b32_e32 v8, 0
	s_delay_alu instid0(VALU_DEP_2)
	v_mov_b32_e32 v3, v7
	s_add_nc_u64 s[16:17], s[14:15], 8
	s_add_nc_u64 s[18:19], s[12:13], 8
	s_mov_b64 s[20:21], 1
	v_mov_b32_e32 v4, v8
	s_wait_kmcnt 0x0
	s_add_nc_u64 s[22:23], s[2:3], 8
	s_mov_b32 s3, 0
.LBB0_2:                                ; =>This Inner Loop Header: Depth=1
	s_load_b64 s[24:25], s[22:23], 0x0
                                        ; implicit-def: $vgpr5_vgpr6
	s_mov_b32 s2, exec_lo
	s_wait_kmcnt 0x0
	v_or_b32_e32 v2, s25, v10
	s_delay_alu instid0(VALU_DEP_1)
	v_cmpx_ne_u64_e32 0, v[1:2]
	s_wait_alu 0xfffe
	s_xor_b32 s26, exec_lo, s2
	s_cbranch_execz .LBB0_4
; %bb.3:                                ;   in Loop: Header=BB0_2 Depth=1
	s_cvt_f32_u32 s2, s24
	s_cvt_f32_u32 s27, s25
	s_sub_nc_u64 s[30:31], 0, s[24:25]
	s_wait_alu 0xfffe
	s_delay_alu instid0(SALU_CYCLE_1) | instskip(SKIP_1) | instid1(SALU_CYCLE_2)
	s_fmamk_f32 s2, s27, 0x4f800000, s2
	s_wait_alu 0xfffe
	v_s_rcp_f32 s2, s2
	s_delay_alu instid0(TRANS32_DEP_1) | instskip(SKIP_1) | instid1(SALU_CYCLE_2)
	s_mul_f32 s2, s2, 0x5f7ffffc
	s_wait_alu 0xfffe
	s_mul_f32 s27, s2, 0x2f800000
	s_wait_alu 0xfffe
	s_delay_alu instid0(SALU_CYCLE_2) | instskip(SKIP_1) | instid1(SALU_CYCLE_2)
	s_trunc_f32 s27, s27
	s_wait_alu 0xfffe
	s_fmamk_f32 s2, s27, 0xcf800000, s2
	s_cvt_u32_f32 s29, s27
	s_wait_alu 0xfffe
	s_delay_alu instid0(SALU_CYCLE_1) | instskip(SKIP_1) | instid1(SALU_CYCLE_2)
	s_cvt_u32_f32 s28, s2
	s_wait_alu 0xfffe
	s_mul_u64 s[34:35], s[30:31], s[28:29]
	s_wait_alu 0xfffe
	s_mul_hi_u32 s37, s28, s35
	s_mul_i32 s36, s28, s35
	s_mul_hi_u32 s2, s28, s34
	s_mul_i32 s33, s29, s34
	s_wait_alu 0xfffe
	s_add_nc_u64 s[36:37], s[2:3], s[36:37]
	s_mul_hi_u32 s27, s29, s34
	s_mul_hi_u32 s38, s29, s35
	s_add_co_u32 s2, s36, s33
	s_wait_alu 0xfffe
	s_add_co_ci_u32 s2, s37, s27
	s_mul_i32 s34, s29, s35
	s_add_co_ci_u32 s35, s38, 0
	s_wait_alu 0xfffe
	s_add_nc_u64 s[34:35], s[2:3], s[34:35]
	s_wait_alu 0xfffe
	v_add_co_u32 v2, s2, s28, s34
	s_delay_alu instid0(VALU_DEP_1) | instskip(SKIP_1) | instid1(VALU_DEP_1)
	s_cmp_lg_u32 s2, 0
	s_add_co_ci_u32 s29, s29, s35
	v_readfirstlane_b32 s28, v2
	s_wait_alu 0xfffe
	s_delay_alu instid0(VALU_DEP_1)
	s_mul_u64 s[30:31], s[30:31], s[28:29]
	s_wait_alu 0xfffe
	s_mul_hi_u32 s35, s28, s31
	s_mul_i32 s34, s28, s31
	s_mul_hi_u32 s2, s28, s30
	s_mul_i32 s33, s29, s30
	s_wait_alu 0xfffe
	s_add_nc_u64 s[34:35], s[2:3], s[34:35]
	s_mul_hi_u32 s27, s29, s30
	s_mul_hi_u32 s28, s29, s31
	s_wait_alu 0xfffe
	s_add_co_u32 s2, s34, s33
	s_add_co_ci_u32 s2, s35, s27
	s_mul_i32 s30, s29, s31
	s_add_co_ci_u32 s31, s28, 0
	s_wait_alu 0xfffe
	s_add_nc_u64 s[30:31], s[2:3], s[30:31]
	s_wait_alu 0xfffe
	v_add_co_u32 v2, s2, v2, s30
	s_delay_alu instid0(VALU_DEP_1) | instskip(SKIP_1) | instid1(VALU_DEP_1)
	s_cmp_lg_u32 s2, 0
	s_add_co_ci_u32 s2, s29, s31
	v_mul_hi_u32 v15, v9, v2
	s_wait_alu 0xfffe
	v_mad_co_u64_u32 v[5:6], null, v9, s2, 0
	v_mad_co_u64_u32 v[11:12], null, v10, v2, 0
	;; [unrolled: 1-line block ×3, first 2 shown]
	s_delay_alu instid0(VALU_DEP_3) | instskip(SKIP_1) | instid1(VALU_DEP_4)
	v_add_co_u32 v2, vcc_lo, v15, v5
	s_wait_alu 0xfffd
	v_add_co_ci_u32_e32 v5, vcc_lo, 0, v6, vcc_lo
	s_delay_alu instid0(VALU_DEP_2) | instskip(SKIP_1) | instid1(VALU_DEP_2)
	v_add_co_u32 v2, vcc_lo, v2, v11
	s_wait_alu 0xfffd
	v_add_co_ci_u32_e32 v2, vcc_lo, v5, v12, vcc_lo
	s_wait_alu 0xfffd
	v_add_co_ci_u32_e32 v5, vcc_lo, 0, v14, vcc_lo
	s_delay_alu instid0(VALU_DEP_2) | instskip(SKIP_1) | instid1(VALU_DEP_2)
	v_add_co_u32 v2, vcc_lo, v2, v13
	s_wait_alu 0xfffd
	v_add_co_ci_u32_e32 v11, vcc_lo, 0, v5, vcc_lo
	s_delay_alu instid0(VALU_DEP_2) | instskip(SKIP_1) | instid1(VALU_DEP_3)
	v_mul_lo_u32 v12, s25, v2
	v_mad_co_u64_u32 v[5:6], null, s24, v2, 0
	v_mul_lo_u32 v13, s24, v11
	s_delay_alu instid0(VALU_DEP_2) | instskip(NEXT) | instid1(VALU_DEP_2)
	v_sub_co_u32 v5, vcc_lo, v9, v5
	v_add3_u32 v6, v6, v13, v12
	s_delay_alu instid0(VALU_DEP_1) | instskip(SKIP_1) | instid1(VALU_DEP_1)
	v_sub_nc_u32_e32 v12, v10, v6
	s_wait_alu 0xfffd
	v_subrev_co_ci_u32_e64 v12, s2, s25, v12, vcc_lo
	v_add_co_u32 v13, s2, v2, 2
	s_wait_alu 0xf1ff
	v_add_co_ci_u32_e64 v14, s2, 0, v11, s2
	v_sub_co_u32 v15, s2, v5, s24
	v_sub_co_ci_u32_e32 v6, vcc_lo, v10, v6, vcc_lo
	s_wait_alu 0xf1ff
	v_subrev_co_ci_u32_e64 v12, s2, 0, v12, s2
	s_delay_alu instid0(VALU_DEP_3) | instskip(NEXT) | instid1(VALU_DEP_3)
	v_cmp_le_u32_e32 vcc_lo, s24, v15
	v_cmp_eq_u32_e64 s2, s25, v6
	s_wait_alu 0xfffd
	v_cndmask_b32_e64 v15, 0, -1, vcc_lo
	v_cmp_le_u32_e32 vcc_lo, s25, v12
	s_wait_alu 0xfffd
	v_cndmask_b32_e64 v16, 0, -1, vcc_lo
	v_cmp_le_u32_e32 vcc_lo, s24, v5
	;; [unrolled: 3-line block ×3, first 2 shown]
	s_wait_alu 0xfffd
	v_cndmask_b32_e64 v17, 0, -1, vcc_lo
	v_cmp_eq_u32_e32 vcc_lo, s25, v12
	s_wait_alu 0xf1ff
	s_delay_alu instid0(VALU_DEP_2)
	v_cndmask_b32_e64 v5, v17, v5, s2
	s_wait_alu 0xfffd
	v_cndmask_b32_e32 v12, v16, v15, vcc_lo
	v_add_co_u32 v15, vcc_lo, v2, 1
	s_wait_alu 0xfffd
	v_add_co_ci_u32_e32 v16, vcc_lo, 0, v11, vcc_lo
	s_delay_alu instid0(VALU_DEP_3) | instskip(SKIP_2) | instid1(VALU_DEP_3)
	v_cmp_ne_u32_e32 vcc_lo, 0, v12
	s_wait_alu 0xfffd
	v_cndmask_b32_e32 v12, v15, v13, vcc_lo
	v_cndmask_b32_e32 v6, v16, v14, vcc_lo
	v_cmp_ne_u32_e32 vcc_lo, 0, v5
	s_wait_alu 0xfffd
	s_delay_alu instid0(VALU_DEP_2)
	v_dual_cndmask_b32 v5, v2, v12 :: v_dual_cndmask_b32 v6, v11, v6
.LBB0_4:                                ;   in Loop: Header=BB0_2 Depth=1
	s_wait_alu 0xfffe
	s_and_not1_saveexec_b32 s2, s26
	s_cbranch_execz .LBB0_6
; %bb.5:                                ;   in Loop: Header=BB0_2 Depth=1
	v_cvt_f32_u32_e32 v2, s24
	s_sub_co_i32 s26, 0, s24
	s_delay_alu instid0(VALU_DEP_1) | instskip(NEXT) | instid1(TRANS32_DEP_1)
	v_rcp_iflag_f32_e32 v2, v2
	v_mul_f32_e32 v2, 0x4f7ffffe, v2
	s_delay_alu instid0(VALU_DEP_1) | instskip(SKIP_1) | instid1(VALU_DEP_1)
	v_cvt_u32_f32_e32 v2, v2
	s_wait_alu 0xfffe
	v_mul_lo_u32 v5, s26, v2
	s_delay_alu instid0(VALU_DEP_1) | instskip(NEXT) | instid1(VALU_DEP_1)
	v_mul_hi_u32 v5, v2, v5
	v_add_nc_u32_e32 v2, v2, v5
	s_delay_alu instid0(VALU_DEP_1) | instskip(NEXT) | instid1(VALU_DEP_1)
	v_mul_hi_u32 v2, v9, v2
	v_mul_lo_u32 v5, v2, s24
	v_add_nc_u32_e32 v6, 1, v2
	s_delay_alu instid0(VALU_DEP_2) | instskip(NEXT) | instid1(VALU_DEP_1)
	v_sub_nc_u32_e32 v5, v9, v5
	v_subrev_nc_u32_e32 v11, s24, v5
	v_cmp_le_u32_e32 vcc_lo, s24, v5
	s_wait_alu 0xfffd
	s_delay_alu instid0(VALU_DEP_2) | instskip(NEXT) | instid1(VALU_DEP_1)
	v_dual_cndmask_b32 v5, v5, v11 :: v_dual_cndmask_b32 v2, v2, v6
	v_cmp_le_u32_e32 vcc_lo, s24, v5
	s_delay_alu instid0(VALU_DEP_2) | instskip(SKIP_1) | instid1(VALU_DEP_1)
	v_add_nc_u32_e32 v6, 1, v2
	s_wait_alu 0xfffd
	v_dual_cndmask_b32 v5, v2, v6 :: v_dual_mov_b32 v6, v1
.LBB0_6:                                ;   in Loop: Header=BB0_2 Depth=1
	s_wait_alu 0xfffe
	s_or_b32 exec_lo, exec_lo, s2
	s_delay_alu instid0(VALU_DEP_1) | instskip(NEXT) | instid1(VALU_DEP_2)
	v_mul_lo_u32 v2, v6, s24
	v_mul_lo_u32 v13, v5, s25
	s_load_b64 s[26:27], s[18:19], 0x0
	v_mad_co_u64_u32 v[11:12], null, v5, s24, 0
	s_load_b64 s[24:25], s[16:17], 0x0
	s_add_nc_u64 s[20:21], s[20:21], 1
	s_add_nc_u64 s[16:17], s[16:17], 8
	s_wait_alu 0xfffe
	v_cmp_ge_u64_e64 s2, s[20:21], s[10:11]
	s_add_nc_u64 s[18:19], s[18:19], 8
	s_add_nc_u64 s[22:23], s[22:23], 8
	v_add3_u32 v2, v12, v13, v2
	v_sub_co_u32 v9, vcc_lo, v9, v11
	s_wait_alu 0xfffd
	s_delay_alu instid0(VALU_DEP_2) | instskip(SKIP_2) | instid1(VALU_DEP_1)
	v_sub_co_ci_u32_e32 v2, vcc_lo, v10, v2, vcc_lo
	s_and_b32 vcc_lo, exec_lo, s2
	s_wait_kmcnt 0x0
	v_mul_lo_u32 v10, s26, v2
	v_mul_lo_u32 v11, s27, v9
	v_mad_co_u64_u32 v[7:8], null, s26, v9, v[7:8]
	v_mul_lo_u32 v2, s24, v2
	v_mul_lo_u32 v12, s25, v9
	v_mad_co_u64_u32 v[3:4], null, s24, v9, v[3:4]
	s_delay_alu instid0(VALU_DEP_4) | instskip(NEXT) | instid1(VALU_DEP_2)
	v_add3_u32 v8, v11, v8, v10
	v_add3_u32 v4, v12, v4, v2
	s_wait_alu 0xfffe
	s_cbranch_vccnz .LBB0_9
; %bb.7:                                ;   in Loop: Header=BB0_2 Depth=1
	v_dual_mov_b32 v10, v6 :: v_dual_mov_b32 v9, v5
	s_branch .LBB0_2
.LBB0_8:
	v_dual_mov_b32 v3, v7 :: v_dual_mov_b32 v4, v8
	v_dual_mov_b32 v5, v9 :: v_dual_mov_b32 v6, v10
.LBB0_9:
	s_load_b64 s[0:1], s[0:1], 0x28
	v_mul_hi_u32 v2, 0x3291620, v0
	s_lshl_b64 s[10:11], s[10:11], 3
                                        ; implicit-def: $vgpr1
	s_wait_alu 0xfffe
	s_add_nc_u64 s[2:3], s[14:15], s[10:11]
	s_wait_kmcnt 0x0
	v_cmp_gt_u64_e32 vcc_lo, s[0:1], v[5:6]
	v_cmp_le_u64_e64 s0, s[0:1], v[5:6]
	s_delay_alu instid0(VALU_DEP_1)
	s_and_saveexec_b32 s1, s0
	s_wait_alu 0xfffe
	s_xor_b32 s0, exec_lo, s1
; %bb.10:
	v_mul_u32_u24_e32 v1, 0x51, v2
                                        ; implicit-def: $vgpr2
                                        ; implicit-def: $vgpr7_vgpr8
	s_delay_alu instid0(VALU_DEP_1)
	v_sub_nc_u32_e32 v1, v0, v1
                                        ; implicit-def: $vgpr0
; %bb.11:
	s_wait_alu 0xfffe
	s_or_saveexec_b32 s1, s0
	s_load_b64 s[2:3], s[2:3], 0x0
	s_xor_b32 exec_lo, exec_lo, s1
	s_cbranch_execz .LBB0_15
; %bb.12:
	s_add_nc_u64 s[10:11], s[12:13], s[10:11]
	v_lshlrev_b64_e32 v[7:8], 2, v[7:8]
	s_load_b64 s[10:11], s[10:11], 0x0
	s_wait_kmcnt 0x0
	v_mul_lo_u32 v1, s11, v5
	v_mul_lo_u32 v11, s10, v6
	v_mad_co_u64_u32 v[9:10], null, s10, v5, 0
	s_delay_alu instid0(VALU_DEP_1) | instskip(SKIP_1) | instid1(VALU_DEP_2)
	v_add3_u32 v10, v10, v11, v1
	v_mul_u32_u24_e32 v1, 0x51, v2
	v_lshlrev_b64_e32 v[9:10], 2, v[9:10]
	s_delay_alu instid0(VALU_DEP_2) | instskip(NEXT) | instid1(VALU_DEP_1)
	v_sub_nc_u32_e32 v1, v0, v1
	v_lshlrev_b32_e32 v11, 2, v1
	s_delay_alu instid0(VALU_DEP_3) | instskip(SKIP_1) | instid1(VALU_DEP_4)
	v_add_co_u32 v0, s0, s4, v9
	s_wait_alu 0xf1ff
	v_add_co_ci_u32_e64 v2, s0, s5, v10, s0
	s_delay_alu instid0(VALU_DEP_2) | instskip(SKIP_1) | instid1(VALU_DEP_2)
	v_add_co_u32 v7, s0, v0, v7
	s_wait_alu 0xf1ff
	v_add_co_ci_u32_e64 v8, s0, v2, v8, s0
	s_delay_alu instid0(VALU_DEP_2) | instskip(SKIP_1) | instid1(VALU_DEP_2)
	v_add_co_u32 v9, s0, v7, v11
	s_wait_alu 0xf1ff
	v_add_co_ci_u32_e64 v10, s0, 0, v8, s0
	s_clause 0x1d
	global_load_b32 v0, v[9:10], off
	global_load_b32 v2, v[9:10], off offset:324
	global_load_b32 v12, v[9:10], off offset:648
	;; [unrolled: 1-line block ×29, first 2 shown]
	v_add_nc_u32_e32 v10, 0, v11
	v_cmp_eq_u32_e64 s0, 0x50, v1
	s_delay_alu instid0(VALU_DEP_2)
	v_add_nc_u32_e32 v11, 0x400, v10
	v_add_nc_u32_e32 v39, 0x600, v10
	;; [unrolled: 1-line block ×13, first 2 shown]
	s_wait_loadcnt 0x1c
	ds_store_2addr_b32 v10, v0, v2 offset1:81
	s_wait_loadcnt 0x1a
	ds_store_2addr_b32 v10, v12, v13 offset0:162 offset1:243
	s_wait_loadcnt 0x18
	ds_store_2addr_b32 v11, v14, v15 offset0:68 offset1:149
	;; [unrolled: 2-line block ×14, first 2 shown]
	s_and_saveexec_b32 s4, s0
	s_cbranch_execz .LBB0_14
; %bb.13:
	global_load_b32 v0, v[7:8], off offset:9720
	v_dual_mov_b32 v2, 0 :: v_dual_mov_b32 v1, 0x50
	s_wait_loadcnt 0x0
	ds_store_b32 v2, v0 offset:9720
.LBB0_14:
	s_wait_alu 0xfffe
	s_or_b32 exec_lo, exec_lo, s4
.LBB0_15:
	s_delay_alu instid0(SALU_CYCLE_1)
	s_or_b32 exec_lo, exec_lo, s1
	v_lshlrev_b32_e32 v2, 2, v1
	global_wb scope:SCOPE_SE
	s_wait_dscnt 0x0
	s_wait_kmcnt 0x0
	s_barrier_signal -1
	s_barrier_wait -1
	global_inv scope:SCOPE_SE
	v_add_nc_u32_e32 v0, 0, v2
	v_sub_nc_u32_e32 v9, 0, v2
	s_mov_b32 s1, exec_lo
                                        ; implicit-def: $vgpr7_vgpr8
	ds_load_u16 v12, v0
	ds_load_u16 v13, v9 offset:9720
	s_wait_dscnt 0x0
	v_add_f16_e32 v11, v13, v12
	v_sub_f16_e32 v10, v12, v13
	v_cmpx_ne_u32_e32 0, v1
	s_wait_alu 0xfffe
	s_xor_b32 s1, exec_lo, s1
	s_cbranch_execz .LBB0_17
; %bb.16:
	v_mov_b32_e32 v2, 0
	v_add_f16_e32 v11, v13, v12
	v_sub_f16_e32 v12, v12, v13
	s_delay_alu instid0(VALU_DEP_3) | instskip(NEXT) | instid1(VALU_DEP_1)
	v_lshlrev_b64_e32 v[7:8], 2, v[1:2]
	v_add_co_u32 v7, s0, s8, v7
	s_wait_alu 0xf1ff
	s_delay_alu instid0(VALU_DEP_2)
	v_add_co_ci_u32_e64 v8, s0, s9, v8, s0
	global_load_b32 v7, v[7:8], off offset:9680
	ds_load_u16 v8, v9 offset:9722
	ds_load_u16 v10, v0 offset:2
	s_wait_dscnt 0x0
	v_add_f16_e32 v13, v8, v10
	v_sub_f16_e32 v8, v10, v8
	s_wait_loadcnt 0x0
	v_lshrrev_b32_e32 v14, 16, v7
	s_delay_alu instid0(VALU_DEP_1) | instskip(NEXT) | instid1(VALU_DEP_3)
	v_fma_f16 v15, -v12, v14, v11
	v_fma_f16 v16, v13, v14, -v8
	v_fma_f16 v10, v13, v14, v8
	v_fma_f16 v11, v12, v14, v11
	s_delay_alu instid0(VALU_DEP_4) | instskip(NEXT) | instid1(VALU_DEP_4)
	v_fmac_f16_e32 v15, v7, v13
	v_fmac_f16_e32 v16, v12, v7
	s_delay_alu instid0(VALU_DEP_4) | instskip(NEXT) | instid1(VALU_DEP_4)
	v_fmac_f16_e32 v10, v12, v7
	v_fma_f16 v11, -v7, v13, v11
	v_dual_mov_b32 v8, v2 :: v_dual_mov_b32 v7, v1
	s_delay_alu instid0(VALU_DEP_4)
	v_pack_b32_f16 v12, v15, v16
	ds_store_b32 v9, v12 offset:9720
.LBB0_17:
	s_wait_alu 0xfffe
	s_and_not1_saveexec_b32 s0, s1
	s_cbranch_execz .LBB0_19
; %bb.18:
	v_mov_b32_e32 v2, 0
	ds_load_b32 v7, v2 offset:4860
	s_wait_dscnt 0x0
	v_pk_mul_f16 v12, 0xc0004000, v7
	v_mov_b32_e32 v7, 0
	v_mov_b32_e32 v8, 0
	ds_store_b32 v2, v12 offset:4860
.LBB0_19:
	s_wait_alu 0xfffe
	s_or_b32 exec_lo, exec_lo, s0
	v_lshlrev_b64_e32 v[7:8], 2, v[7:8]
	s_add_nc_u64 s[0:1], s[8:9], 0x25d0
	v_perm_b32 v10, v10, v11, 0x5040100
	v_add_nc_u32_e32 v44, 0xe00, v0
	v_add_nc_u32_e32 v40, 0x1600, v0
	;; [unrolled: 1-line block ×3, first 2 shown]
	s_wait_alu 0xfffe
	v_add_co_u32 v7, s0, s0, v7
	s_wait_alu 0xf1ff
	v_add_co_ci_u32_e64 v8, s0, s1, v8, s0
	v_add_nc_u32_e32 v43, 0x1c00, v0
	v_add_nc_u32_e32 v41, 0x1000, v0
	;; [unrolled: 1-line block ×3, first 2 shown]
	s_clause 0x5
	global_load_b32 v2, v[7:8], off offset:324
	global_load_b32 v12, v[7:8], off offset:648
	;; [unrolled: 1-line block ×6, first 2 shown]
	ds_store_b32 v0, v10
	global_load_b32 v10, v[7:8], off offset:2268
	ds_load_b32 v11, v0 offset:324
	ds_load_b32 v17, v9 offset:9396
	global_load_b32 v20, v[7:8], off offset:2592
	v_add_nc_u32_e32 v42, 0x2000, v0
	v_add_nc_u32_e32 v48, 0x400, v0
	;; [unrolled: 1-line block ×8, first 2 shown]
	v_cmp_gt_u32_e64 s0, 9, v1
	s_wait_dscnt 0x1
	v_lshrrev_b32_e32 v18, 16, v11
	s_wait_dscnt 0x0
	v_lshrrev_b32_e32 v19, 16, v17
	v_add_f16_e32 v21, v11, v17
	v_sub_f16_e32 v11, v11, v17
	s_delay_alu instid0(VALU_DEP_3) | instskip(SKIP_3) | instid1(VALU_DEP_1)
	v_add_f16_e32 v17, v19, v18
	v_sub_f16_e32 v18, v18, v19
	s_wait_loadcnt 0x7
	v_lshrrev_b32_e32 v22, 16, v2
	v_fma_f16 v19, v11, v22, v21
	s_delay_alu instid0(VALU_DEP_3) | instskip(SKIP_2) | instid1(VALU_DEP_4)
	v_fma_f16 v23, v17, v22, v18
	v_fma_f16 v21, -v11, v22, v21
	v_fma_f16 v18, v17, v22, -v18
	v_fma_f16 v19, -v2, v17, v19
	s_delay_alu instid0(VALU_DEP_4) | instskip(NEXT) | instid1(VALU_DEP_4)
	v_fmac_f16_e32 v23, v11, v2
	v_fmac_f16_e32 v21, v2, v17
	s_delay_alu instid0(VALU_DEP_4) | instskip(NEXT) | instid1(VALU_DEP_3)
	v_fmac_f16_e32 v18, v11, v2
	v_pack_b32_f16 v2, v19, v23
	s_wait_loadcnt 0x6
	v_lshrrev_b32_e32 v19, 16, v12
	s_delay_alu instid0(VALU_DEP_3)
	v_pack_b32_f16 v11, v21, v18
	ds_store_b32 v0, v2 offset:324
	ds_store_b32 v9, v11 offset:9396
	ds_load_b32 v2, v0 offset:648
	ds_load_b32 v11, v9 offset:9072
	s_wait_dscnt 0x1
	v_lshrrev_b32_e32 v17, 16, v2
	s_wait_dscnt 0x0
	v_lshrrev_b32_e32 v18, 16, v11
	v_add_f16_e32 v21, v2, v11
	v_sub_f16_e32 v2, v2, v11
	s_delay_alu instid0(VALU_DEP_3) | instskip(SKIP_1) | instid1(VALU_DEP_3)
	v_add_f16_e32 v11, v18, v17
	v_sub_f16_e32 v17, v17, v18
	v_fma_f16 v18, v2, v19, v21
	v_fma_f16 v21, -v2, v19, v21
	s_delay_alu instid0(VALU_DEP_3) | instskip(SKIP_1) | instid1(VALU_DEP_4)
	v_fma_f16 v22, v11, v19, v17
	v_fma_f16 v17, v11, v19, -v17
	v_fma_f16 v18, -v12, v11, v18
	s_delay_alu instid0(VALU_DEP_4)
	v_fmac_f16_e32 v21, v12, v11
	s_wait_loadcnt 0x5
	v_lshrrev_b32_e32 v19, 16, v13
	v_fmac_f16_e32 v22, v2, v12
	v_fmac_f16_e32 v17, v2, v12
	global_load_b32 v12, v[7:8], off offset:2916
	v_pack_b32_f16 v2, v18, v22
	v_pack_b32_f16 v11, v21, v17
	ds_store_b32 v0, v2 offset:648
	ds_store_b32 v9, v11 offset:9072
	ds_load_b32 v2, v0 offset:972
	ds_load_b32 v11, v9 offset:8748
	s_wait_dscnt 0x1
	v_lshrrev_b32_e32 v17, 16, v2
	s_wait_dscnt 0x0
	v_lshrrev_b32_e32 v18, 16, v11
	v_add_f16_e32 v21, v2, v11
	v_sub_f16_e32 v2, v2, v11
	s_delay_alu instid0(VALU_DEP_3) | instskip(SKIP_1) | instid1(VALU_DEP_3)
	v_add_f16_e32 v11, v18, v17
	v_sub_f16_e32 v17, v17, v18
	v_fma_f16 v18, v2, v19, v21
	v_fma_f16 v21, -v2, v19, v21
	s_delay_alu instid0(VALU_DEP_3) | instskip(SKIP_1) | instid1(VALU_DEP_4)
	v_fma_f16 v22, v11, v19, v17
	v_fma_f16 v17, v11, v19, -v17
	v_fma_f16 v18, -v13, v11, v18
	s_delay_alu instid0(VALU_DEP_4)
	v_fmac_f16_e32 v21, v13, v11
	s_wait_loadcnt 0x5
	v_lshrrev_b32_e32 v19, 16, v14
	v_fmac_f16_e32 v22, v2, v13
	v_fmac_f16_e32 v17, v2, v13
	global_load_b32 v13, v[7:8], off offset:3240
	v_pack_b32_f16 v2, v18, v22
	;; [unrolled: 28-line block ×5, first 2 shown]
	v_pack_b32_f16 v11, v21, v17
	ds_store_b32 v0, v2 offset:1944
	ds_store_b32 v9, v11 offset:7776
	ds_load_b32 v2, v0 offset:2268
	ds_load_b32 v11, v9 offset:7452
	global_load_b32 v7, v[7:8], off offset:4536
	s_wait_dscnt 0x1
	v_lshrrev_b32_e32 v17, 16, v2
	s_wait_dscnt 0x0
	v_lshrrev_b32_e32 v18, 16, v11
	v_add_f16_e32 v21, v2, v11
	v_sub_f16_e32 v2, v2, v11
	s_delay_alu instid0(VALU_DEP_3) | instskip(SKIP_1) | instid1(VALU_DEP_3)
	v_add_f16_e32 v11, v18, v17
	v_sub_f16_e32 v17, v17, v18
	v_fma_f16 v18, v2, v19, v21
	v_fma_f16 v21, -v2, v19, v21
	s_delay_alu instid0(VALU_DEP_3) | instskip(SKIP_1) | instid1(VALU_DEP_4)
	v_fma_f16 v22, v11, v19, v17
	v_fma_f16 v17, v11, v19, -v17
	v_fma_f16 v18, -v10, v11, v18
	s_delay_alu instid0(VALU_DEP_4) | instskip(NEXT) | instid1(VALU_DEP_4)
	v_fmac_f16_e32 v21, v10, v11
	v_fmac_f16_e32 v22, v2, v10
	s_delay_alu instid0(VALU_DEP_4) | instskip(NEXT) | instid1(VALU_DEP_2)
	v_fmac_f16_e32 v17, v2, v10
	v_pack_b32_f16 v2, v18, v22
	s_delay_alu instid0(VALU_DEP_2)
	v_pack_b32_f16 v10, v21, v17
	ds_store_b32 v0, v2 offset:2268
	ds_store_b32 v9, v10 offset:7452
	ds_load_b32 v2, v0 offset:2592
	ds_load_b32 v8, v9 offset:7128
	s_wait_loadcnt 0x6
	v_lshrrev_b32_e32 v17, 16, v20
	s_wait_dscnt 0x1
	v_lshrrev_b32_e32 v10, 16, v2
	s_wait_dscnt 0x0
	v_lshrrev_b32_e32 v11, 16, v8
	v_add_f16_e32 v18, v2, v8
	v_sub_f16_e32 v2, v2, v8
	s_delay_alu instid0(VALU_DEP_3) | instskip(SKIP_1) | instid1(VALU_DEP_3)
	v_add_f16_e32 v8, v11, v10
	v_sub_f16_e32 v10, v10, v11
	v_fma_f16 v11, v2, v17, v18
	v_fma_f16 v18, -v2, v17, v18
	s_delay_alu instid0(VALU_DEP_3) | instskip(SKIP_1) | instid1(VALU_DEP_4)
	v_fma_f16 v19, v8, v17, v10
	v_fma_f16 v10, v8, v17, -v10
	v_fma_f16 v11, -v20, v8, v11
	s_delay_alu instid0(VALU_DEP_4) | instskip(NEXT) | instid1(VALU_DEP_4)
	v_fmac_f16_e32 v18, v20, v8
	v_fmac_f16_e32 v19, v2, v20
	s_delay_alu instid0(VALU_DEP_4) | instskip(NEXT) | instid1(VALU_DEP_2)
	v_fmac_f16_e32 v10, v2, v20
	v_pack_b32_f16 v2, v11, v19
	s_delay_alu instid0(VALU_DEP_2)
	v_pack_b32_f16 v8, v18, v10
	ds_store_b32 v0, v2 offset:2592
	ds_store_b32 v9, v8 offset:7128
	ds_load_b32 v2, v0 offset:2916
	ds_load_b32 v8, v9 offset:6804
	s_wait_dscnt 0x1
	v_lshrrev_b32_e32 v10, 16, v2
	s_wait_dscnt 0x0
	v_lshrrev_b32_e32 v11, 16, v8
	v_add_f16_e32 v18, v2, v8
	v_sub_f16_e32 v2, v2, v8
	s_delay_alu instid0(VALU_DEP_3) | instskip(SKIP_3) | instid1(VALU_DEP_1)
	v_add_f16_e32 v8, v11, v10
	v_sub_f16_e32 v10, v10, v11
	s_wait_loadcnt 0x5
	v_lshrrev_b32_e32 v17, 16, v12
	v_fma_f16 v11, v2, v17, v18
	s_delay_alu instid0(VALU_DEP_3) | instskip(SKIP_2) | instid1(VALU_DEP_4)
	v_fma_f16 v19, v8, v17, v10
	v_fma_f16 v18, -v2, v17, v18
	v_fma_f16 v10, v8, v17, -v10
	v_fma_f16 v11, -v12, v8, v11
	s_delay_alu instid0(VALU_DEP_4) | instskip(NEXT) | instid1(VALU_DEP_4)
	v_fmac_f16_e32 v19, v2, v12
	v_fmac_f16_e32 v18, v12, v8
	s_delay_alu instid0(VALU_DEP_4) | instskip(NEXT) | instid1(VALU_DEP_3)
	v_fmac_f16_e32 v10, v2, v12
	v_pack_b32_f16 v2, v11, v19
	s_delay_alu instid0(VALU_DEP_2)
	v_pack_b32_f16 v8, v18, v10
	ds_store_b32 v0, v2 offset:2916
	ds_store_b32 v9, v8 offset:6804
	ds_load_b32 v2, v0 offset:3240
	ds_load_b32 v8, v9 offset:6480
	s_wait_dscnt 0x1
	v_lshrrev_b32_e32 v10, 16, v2
	s_wait_dscnt 0x0
	v_lshrrev_b32_e32 v11, 16, v8
	v_add_f16_e32 v17, v2, v8
	v_sub_f16_e32 v2, v2, v8
	s_wait_loadcnt 0x4
	v_lshrrev_b32_e32 v12, 16, v13
	v_add_f16_e32 v8, v11, v10
	v_sub_f16_e32 v10, v10, v11
	s_delay_alu instid0(VALU_DEP_3) | instskip(SKIP_1) | instid1(VALU_DEP_3)
	v_fma_f16 v11, v2, v12, v17
	v_fma_f16 v17, -v2, v12, v17
	v_fma_f16 v18, v8, v12, v10
	v_fma_f16 v10, v8, v12, -v10
	s_delay_alu instid0(VALU_DEP_4) | instskip(NEXT) | instid1(VALU_DEP_4)
	v_fma_f16 v11, -v13, v8, v11
	v_fmac_f16_e32 v17, v13, v8
	s_delay_alu instid0(VALU_DEP_4) | instskip(NEXT) | instid1(VALU_DEP_4)
	v_fmac_f16_e32 v18, v2, v13
	v_fmac_f16_e32 v10, v2, v13
	s_delay_alu instid0(VALU_DEP_2) | instskip(NEXT) | instid1(VALU_DEP_2)
	v_pack_b32_f16 v2, v11, v18
	v_pack_b32_f16 v8, v17, v10
	ds_store_b32 v0, v2 offset:3240
	ds_store_b32 v9, v8 offset:6480
	ds_load_b32 v2, v0 offset:3564
	ds_load_b32 v8, v9 offset:6156
	s_wait_dscnt 0x1
	v_lshrrev_b32_e32 v10, 16, v2
	s_wait_dscnt 0x0
	v_lshrrev_b32_e32 v11, 16, v8
	v_add_f16_e32 v13, v2, v8
	v_sub_f16_e32 v2, v2, v8
	s_wait_loadcnt 0x3
	v_lshrrev_b32_e32 v12, 16, v14
	v_add_f16_e32 v8, v11, v10
	v_sub_f16_e32 v10, v10, v11
	s_delay_alu instid0(VALU_DEP_3) | instskip(SKIP_1) | instid1(VALU_DEP_3)
	v_fma_f16 v11, v2, v12, v13
	v_fma_f16 v13, -v2, v12, v13
	v_fma_f16 v17, v8, v12, v10
	v_fma_f16 v10, v8, v12, -v10
	s_delay_alu instid0(VALU_DEP_4) | instskip(NEXT) | instid1(VALU_DEP_4)
	v_fma_f16 v11, -v14, v8, v11
	v_fmac_f16_e32 v13, v14, v8
	s_delay_alu instid0(VALU_DEP_4) | instskip(NEXT) | instid1(VALU_DEP_4)
	v_fmac_f16_e32 v17, v2, v14
	v_fmac_f16_e32 v10, v2, v14
	s_delay_alu instid0(VALU_DEP_2) | instskip(NEXT) | instid1(VALU_DEP_2)
	v_pack_b32_f16 v2, v11, v17
	;; [unrolled: 28-line block ×3, first 2 shown]
	v_pack_b32_f16 v8, v13, v10
	ds_store_b32 v0, v2 offset:3888
	ds_store_b32 v9, v8 offset:5832
	ds_load_b32 v2, v0 offset:4212
	ds_load_b32 v8, v9 offset:5508
	s_wait_dscnt 0x1
	v_lshrrev_b32_e32 v10, 16, v2
	s_wait_dscnt 0x0
	v_lshrrev_b32_e32 v11, 16, v8
	v_add_f16_e32 v13, v2, v8
	v_sub_f16_e32 v2, v2, v8
	s_wait_loadcnt 0x1
	v_lshrrev_b32_e32 v12, 16, v16
	v_add_f16_e32 v8, v11, v10
	v_sub_f16_e32 v10, v10, v11
	s_delay_alu instid0(VALU_DEP_3) | instskip(SKIP_1) | instid1(VALU_DEP_3)
	v_fma_f16 v11, v2, v12, v13
	v_fma_f16 v13, -v2, v12, v13
	v_fma_f16 v14, v8, v12, v10
	v_fma_f16 v10, v8, v12, -v10
	s_delay_alu instid0(VALU_DEP_4) | instskip(NEXT) | instid1(VALU_DEP_4)
	v_fma_f16 v11, -v16, v8, v11
	v_fmac_f16_e32 v13, v16, v8
	s_delay_alu instid0(VALU_DEP_4) | instskip(NEXT) | instid1(VALU_DEP_4)
	v_fmac_f16_e32 v14, v2, v16
	v_fmac_f16_e32 v10, v2, v16
	s_wait_loadcnt 0x0
	v_lshrrev_b32_e32 v12, 16, v7
	s_delay_alu instid0(VALU_DEP_3) | instskip(NEXT) | instid1(VALU_DEP_3)
	v_pack_b32_f16 v2, v11, v14
	v_pack_b32_f16 v8, v13, v10
	ds_store_b32 v0, v2 offset:4212
	ds_store_b32 v9, v8 offset:5508
	ds_load_b32 v2, v0 offset:4536
	ds_load_b32 v8, v9 offset:5184
	s_wait_dscnt 0x1
	v_lshrrev_b32_e32 v10, 16, v2
	s_wait_dscnt 0x0
	v_lshrrev_b32_e32 v11, 16, v8
	v_add_f16_e32 v13, v2, v8
	v_sub_f16_e32 v8, v2, v8
	v_add_nc_u32_e32 v2, 0x800, v0
	s_delay_alu instid0(VALU_DEP_4) | instskip(SKIP_1) | instid1(VALU_DEP_4)
	v_add_f16_e32 v14, v11, v10
	v_sub_f16_e32 v10, v10, v11
	v_fma_f16 v11, v8, v12, v13
	v_fma_f16 v13, -v8, v12, v13
	s_delay_alu instid0(VALU_DEP_3) | instskip(SKIP_1) | instid1(VALU_DEP_4)
	v_fma_f16 v15, v14, v12, v10
	v_fma_f16 v10, v14, v12, -v10
	v_fma_f16 v11, -v7, v14, v11
	s_delay_alu instid0(VALU_DEP_4) | instskip(NEXT) | instid1(VALU_DEP_4)
	v_fmac_f16_e32 v13, v7, v14
	v_fmac_f16_e32 v15, v8, v7
	s_delay_alu instid0(VALU_DEP_4) | instskip(NEXT) | instid1(VALU_DEP_2)
	v_fmac_f16_e32 v10, v8, v7
	v_pack_b32_f16 v7, v11, v15
	s_delay_alu instid0(VALU_DEP_2)
	v_pack_b32_f16 v8, v13, v10
	ds_store_b32 v0, v7 offset:4536
	ds_store_b32 v9, v8 offset:5184
	global_wb scope:SCOPE_SE
	s_wait_dscnt 0x0
	s_barrier_signal -1
	s_barrier_wait -1
	global_inv scope:SCOPE_SE
	global_wb scope:SCOPE_SE
	s_barrier_signal -1
	s_barrier_wait -1
	global_inv scope:SCOPE_SE
	ds_load_2addr_b32 v[11:12], v44 offset0:76 offset1:157
	ds_load_2addr_b32 v[9:10], v40 offset0:50 offset1:131
	;; [unrolled: 1-line block ×4, first 2 shown]
	ds_load_2addr_b32 v[16:17], v0 offset1:81
	ds_load_2addr_b32 v[21:22], v0 offset0:162 offset1:243
	ds_load_2addr_b32 v[23:24], v2 offset0:136 offset1:217
	;; [unrolled: 1-line block ×10, first 2 shown]
	global_wb scope:SCOPE_SE
	s_wait_dscnt 0x0
	s_barrier_signal -1
	s_barrier_wait -1
	global_inv scope:SCOPE_SE
	v_lshrrev_b32_e32 v15, 16, v16
	v_lshrrev_b32_e32 v19, 16, v22
	;; [unrolled: 1-line block ×4, first 2 shown]
	v_add_f16_e32 v73, v26, v28
	v_lshrrev_b32_e32 v78, 16, v32
	v_lshrrev_b32_e32 v65, 16, v11
	v_add_f16_e32 v18, v11, v9
	v_pk_add_f16 v60, v16, v13
	v_pk_add_f16 v95, v17, v14
	v_lshrrev_b32_e32 v51, 16, v13
	v_lshrrev_b32_e32 v64, 16, v7
	;; [unrolled: 1-line block ×3, first 2 shown]
	v_sub_f16_e32 v67, v7, v9
	v_sub_f16_e32 v68, v13, v11
	v_add_f16_e32 v20, v13, v7
	v_sub_f16_e32 v71, v9, v7
	v_sub_f16_e32 v72, v11, v13
	v_lshrrev_b32_e32 v82, 16, v28
	v_sub_f16_e32 v81, v32, v28
	v_sub_f16_e32 v83, v24, v26
	v_add_f16_e32 v74, v24, v32
	v_sub_f16_e32 v85, v26, v24
	v_pk_add_f16 v79, v22, v24
	v_sub_f16_e32 v56, v24, v32
	v_add_f16_e32 v24, v12, v10
	v_lshrrev_b32_e32 v87, 16, v8
	v_lshrrev_b32_e32 v88, 16, v12
	;; [unrolled: 1-line block ×3, first 2 shown]
	v_add_f16_e32 v92, v14, v8
	v_sub_f16_e32 v93, v10, v8
	v_sub_f16_e32 v94, v12, v14
	v_add_f16_e32 v98, v33, v76
	v_pk_add_f16 v100, v29, v33
	v_add_f16_e32 v101, v25, v27
	v_lshrrev_b32_e32 v102, 16, v23
	v_pk_add_f16 v104, v21, v23
	v_sub_f16_e32 v107, v23, v25
	v_add_f16_e32 v109, v23, v31
	v_sub_f16_e32 v110, v25, v23
	v_pk_add_f16 v111, v30, v34
	v_sub_f16_e32 v54, v23, v31
	v_add_f16_e32 v112, v34, v77
	v_add_f16_e32 v23, v62, v69
	;; [unrolled: 1-line block ×3, first 2 shown]
	v_pk_add_f16 v121, v60, v11
	v_pk_add_f16 v95, v95, v12
	v_sub_f16_e32 v35, v13, v7
	v_sub_f16_e32 v36, v11, v9
	;; [unrolled: 1-line block ×4, first 2 shown]
	v_lshrrev_b32_e32 v86, 16, v14
	v_sub_f16_e32 v90, v8, v10
	v_sub_f16_e32 v91, v14, v12
	v_lshrrev_b32_e32 v13, 16, v17
	v_sub_f16_e32 v55, v14, v8
	v_sub_f16_e32 v57, v12, v10
	;; [unrolled: 3-line block ×3, first 2 shown]
	v_sub_f16_e32 v52, v33, v76
	v_lshrrev_b32_e32 v103, 16, v25
	v_lshrrev_b32_e32 v105, 16, v27
	v_sub_f16_e32 v106, v31, v27
	v_sub_f16_e32 v53, v25, v27
	v_lshrrev_b32_e32 v14, 16, v21
	v_sub_f16_e32 v38, v34, v77
	v_lshrrev_b32_e32 v113, 16, v33
	v_sub_f16_e32 v114, v33, v62
	v_sub_f16_e32 v115, v62, v33
	v_lshrrev_b32_e32 v116, 16, v34
	v_sub_f16_e32 v117, v34, v63
	v_sub_f16_e32 v118, v63, v34
	v_lshrrev_b32_e32 v119, 16, v62
	v_lshrrev_b32_e32 v122, 16, v63
	v_fma_f16 v18, -0.5, v18, v16
	v_fma_f16 v20, -0.5, v20, v16
	;; [unrolled: 1-line block ×4, first 2 shown]
	v_lshrrev_b32_e32 v92, 16, v69
	v_lshrrev_b32_e32 v34, 16, v29
	v_pk_add_f16 v123, v79, v26
	v_pk_add_f16 v104, v104, v25
	v_lshrrev_b32_e32 v33, 16, v30
	v_fma_f16 v24, -0.5, v73, v22
	v_fma_f16 v26, -0.5, v74, v22
	;; [unrolled: 1-line block ×4, first 2 shown]
	v_pk_add_f16 v100, v100, v62
	v_pk_add_f16 v101, v111, v63
	v_fma_f16 v23, -0.5, v23, v29
	v_fma_f16 v25, -0.5, v98, v29
	v_fma_f16 v21, -0.5, v120, v30
	v_fma_f16 v22, -0.5, v112, v30
	v_add_f16_e32 v74, v68, v67
	v_add_f16_e32 v73, v72, v71
	v_sub_f16_e32 v79, v65, v66
	v_add_f16_e32 v29, v65, v66
	v_sub_f16_e32 v98, v51, v65
	v_sub_f16_e32 v109, v65, v51
	;; [unrolled: 1-line block ×3, first 2 shown]
	v_add_f16_e32 v111, v51, v64
	v_sub_f16_e32 v51, v64, v66
	v_sub_f16_e32 v112, v66, v64
	v_add_f16_e32 v68, v83, v81
	v_sub_f16_e32 v81, v80, v82
	v_add_f16_e32 v120, v80, v82
	v_sub_f16_e32 v124, v75, v80
	v_sub_f16_e32 v125, v80, v75
	;; [unrolled: 1-line block ×3, first 2 shown]
	v_add_f16_e32 v126, v75, v78
	v_sub_f16_e32 v127, v78, v82
	v_sub_f16_e64 v128, v82, v78
	v_add_f16_e32 v64, v94, v93
	v_sub_f16_e32 v83, v88, v89
	v_add_f16_e32 v93, v88, v89
	v_sub_f16_e64 v130, v87, v89
	v_sub_f16_e64 v131, v89, v87
	v_lshrrev_b32_e32 v71, 16, v31
	v_pk_add_f16 v66, v121, v9
	v_pk_add_f16 v78, v95, v10
	v_lshrrev_b32_e32 v89, 16, v70
	v_sub_f16_e32 v108, v27, v31
	v_sub_f16_e32 v61, v62, v69
	;; [unrolled: 1-line block ×3, first 2 shown]
	v_add_f16_e32 v67, v85, v84
	v_add_f16_e32 v65, v91, v90
	;; [unrolled: 1-line block ×4, first 2 shown]
	v_sub_f16_e32 v84, v119, v92
	v_add_f16_e32 v95, v119, v92
	v_sub_f16_e32 v97, v113, v119
	v_sub_f16_e32 v99, v119, v113
	v_pk_add_f16 v27, v104, v27
	v_sub_f16_e32 v85, v113, v96
	v_add_f16_e32 v104, v113, v96
	v_sub_f16_e32 v113, v96, v92
	v_sub_f16_e32 v96, v92, v96
	v_add_f16_e32 v9, v107, v106
	v_pk_add_f16 v90, v100, v69
	v_pk_add_f16 v92, v101, v70
	v_sub_f16_e32 v101, v102, v103
	v_pk_add_f16 v75, v66, v7
	v_pk_add_f16 v66, v78, v8
	v_sub_f16_e32 v106, v71, v105
	v_lshrrev_b32_e32 v8, 16, v77
	v_add_f16_e32 v107, v122, v89
	v_add_f16_e32 v10, v110, v108
	v_sub_f16_e32 v108, v116, v122
	v_sub_f16_e32 v110, v122, v116
	v_pk_add_f16 v76, v90, v76
	v_sub_f16_e32 v90, v116, v8
	v_add_f16_e32 v114, v116, v8
	v_sub_f16_e32 v115, v8, v89
	v_sub_f16_e32 v116, v89, v8
	v_add_f16_e32 v101, v101, v106
	v_fma_f16 v106, -0.5, v107, v33
	v_fmamk_f16 v107, v30, 0xbb9c, v18
	v_fmac_f16_e32 v18, 0x3b9c, v30
	v_sub_f16_e32 v82, v86, v87
	v_fma_f16 v121, -0.5, v95, v34
	v_fmac_f16_e32 v34, -0.5, v104
	v_add_f16_e32 v104, v108, v115
	v_add_f16_e32 v108, v110, v116
	v_fmamk_f16 v110, v79, 0x3b9c, v20
	v_fmac_f16_e32 v20, 0xbb9c, v79
	v_fmac_f16_e32 v107, 0xb8b4, v79
	v_fmac_f16_e32 v18, 0x38b4, v79
	v_fmamk_f16 v79, v80, 0xbb9c, v24
	v_fmac_f16_e32 v24, 0x3b9c, v80
	v_fmac_f16_e32 v33, -0.5, v114
	v_fmamk_f16 v114, v81, 0x3b9c, v26
	v_fmac_f16_e32 v26, 0xbb9c, v81
	v_fmac_f16_e32 v79, 0xb8b4, v81
	;; [unrolled: 1-line block ×3, first 2 shown]
	v_fmamk_f16 v81, v82, 0xbb9c, v16
	v_fmac_f16_e32 v16, 0x3b9c, v82
	v_pk_add_f16 v28, v123, v28
	v_add_f16_e32 v109, v109, v112
	v_fma_f16 v112, -0.5, v120, v19
	v_fmac_f16_e32 v19, -0.5, v126
	v_fmac_f16_e32 v114, 0xb8b4, v80
	v_fmac_f16_e32 v26, 0x38b4, v80
	v_fmamk_f16 v80, v83, 0x3b9c, v17
	v_fmac_f16_e32 v17, 0xbb9c, v83
	v_add_f16_e64 v129, v86, v87
	v_sub_f16_e32 v87, v102, v71
	v_pk_add_f16 v69, v27, v31
	v_and_b32_e32 v27, 0xff, v1
	v_fmac_f16_e32 v81, 0xb8b4, v83
	v_fmac_f16_e32 v16, 0x38b4, v83
	v_fmamk_f16 v83, v85, 0xbb9c, v23
	v_fmac_f16_e32 v23, 0x3b9c, v85
	v_pk_add_f16 v78, v28, v32
	v_fma_f16 v119, -0.5, v93, v13
	v_fmac_f16_e32 v80, 0xb8b4, v82
	v_fmac_f16_e32 v17, 0x38b4, v82
	v_fmamk_f16 v82, v84, 0x3b9c, v25
	v_fmac_f16_e32 v25, 0xbb9c, v84
	v_fmac_f16_e32 v114, 0x34f2, v67
	;; [unrolled: 1-line block ×3, first 2 shown]
	v_fmamk_f16 v67, v37, 0xbb9c, v19
	v_fmac_f16_e32 v19, 0x3b9c, v37
	v_sub_f16_e32 v91, v86, v88
	v_sub_f16_e32 v94, v88, v86
	;; [unrolled: 1-line block ×4, first 2 shown]
	v_add_f16_e32 v100, v103, v105
	v_sub_f16_e32 v103, v103, v102
	v_add_f16_e32 v102, v102, v71
	v_sub_f16_e32 v105, v105, v71
	v_fma_f16 v8, -0.5, v29, v15
	v_mul_lo_u16 v29, 0xcd, v27
	v_and_b32_e32 v28, 0xff, v59
	v_fmac_f16_e32 v83, 0xb8b4, v84
	v_fmac_f16_e32 v23, 0x38b4, v84
	v_fmamk_f16 v84, v87, 0xbb9c, v11
	v_fmac_f16_e32 v11, 0x3b9c, v87
	v_fmac_f16_e64 v13, -0.5, v129
	v_fmac_f16_e32 v82, 0xb8b4, v85
	v_fmac_f16_e32 v25, 0x38b4, v85
	;; [unrolled: 1-line block ×4, first 2 shown]
	v_fmamk_f16 v68, v56, 0x3b9c, v112
	v_fmac_f16_e32 v112, 0xbb9c, v56
	v_fmac_f16_e32 v67, 0x38b4, v56
	;; [unrolled: 1-line block ×3, first 2 shown]
	v_pk_add_f16 v56, v75, v78
	v_pk_add_f16 v75, v75, v78 neg_lo:[0,1] neg_hi:[0,1]
	v_fmamk_f16 v78, v55, 0x3b9c, v119
	v_fmac_f16_e32 v119, 0xbb9c, v55
	v_fmac_f16_e32 v80, 0x34f2, v64
	;; [unrolled: 1-line block ×3, first 2 shown]
	v_fmamk_f16 v64, v52, 0x3b9c, v121
	v_fmac_f16_e32 v121, 0xbb9c, v52
	v_sub_f16_e32 v72, v77, v70
	v_add_f16_e32 v71, v118, v88
	v_sub_f16_e32 v88, v122, v89
	v_fma_f16 v100, -0.5, v100, v14
	v_fmac_f16_e32 v14, -0.5, v102
	v_lshrrev_b16 v29, 11, v29
	v_add_f16_e32 v102, v103, v105
	v_mul_lo_u16 v103, 0xcd, v28
	v_fmamk_f16 v85, v86, 0x3b9c, v12
	v_fmac_f16_e32 v12, 0xbb9c, v86
	v_fmac_f16_e32 v84, 0xb8b4, v86
	v_fmac_f16_e32 v11, 0x38b4, v86
	v_fmamk_f16 v86, v90, 0xbb9c, v21
	v_fmac_f16_e32 v21, 0x3b9c, v90
	v_fmac_f16_e32 v81, 0x34f2, v65
	v_fmac_f16_e32 v16, 0x34f2, v65
	;; [unrolled: 4-line block ×5, first 2 shown]
	v_fmamk_f16 v61, v60, 0xbb9c, v33
	v_add_f16_e32 v70, v117, v72
	v_fmac_f16_e32 v15, -0.5, v111
	v_add_f16_e32 v111, v124, v127
	v_fmac_f16_e32 v110, 0xb8b4, v30
	v_fmac_f16_e32 v20, 0x38b4, v30
	;; [unrolled: 1-line block ×4, first 2 shown]
	v_fmamk_f16 v87, v88, 0x3b9c, v22
	v_fmac_f16_e32 v22, 0xbb9c, v88
	v_fmac_f16_e32 v86, 0xb8b4, v88
	;; [unrolled: 1-line block ×3, first 2 shown]
	v_mul_lo_u16 v88, v29, 10
	v_lshrrev_b16 v30, 11, v103
	v_fmac_f16_e32 v68, 0x38b4, v37
	v_fmac_f16_e32 v33, 0x3b9c, v60
	v_add_f16_e64 v117, v125, v128
	v_fmac_f16_e32 v112, 0xb8b4, v37
	v_add_f16_e32 v113, v97, v113
	v_add_f16_e32 v99, v99, v96
	v_fmac_f16_e32 v107, 0x34f2, v74
	v_fmac_f16_e32 v18, 0x34f2, v74
	v_fmamk_f16 v74, v35, 0x3b9c, v8
	v_fmac_f16_e32 v8, 0xbb9c, v35
	v_fmac_f16_e32 v65, 0x38b4, v55
	v_fmac_f16_e32 v13, 0xb8b4, v55
	v_fmamk_f16 v55, v54, 0x3b9c, v100
	v_fmac_f16_e32 v100, 0xbb9c, v54
	;; [unrolled: 4-line block ×3, first 2 shown]
	v_fmac_f16_e32 v57, 0x38b4, v52
	v_fmac_f16_e32 v34, 0xb8b4, v52
	;; [unrolled: 1-line block ×4, first 2 shown]
	v_sub_nc_u16 v88, v1, v88
	v_fmac_f16_e32 v110, 0x34f2, v73
	v_fmac_f16_e32 v20, 0x34f2, v73
	v_fmamk_f16 v73, v36, 0xbb9c, v15
	v_fmac_f16_e32 v15, 0x3b9c, v36
	v_mul_lo_u16 v103, v30, 10
	v_fmac_f16_e32 v86, 0x34f2, v70
	v_fmac_f16_e32 v62, 0x38b4, v60
	;; [unrolled: 1-line block ×4, first 2 shown]
	v_pk_add_f16 v72, v92, v77
	v_fmac_f16_e32 v112, 0x34f2, v111
	v_fmac_f16_e32 v67, 0x34f2, v117
	;; [unrolled: 1-line block ×3, first 2 shown]
	v_mul_f16_e32 v38, 0x38b4, v79
	v_fmac_f16_e32 v87, 0xb8b4, v90
	v_fmac_f16_e32 v22, 0x38b4, v90
	v_add_f16_e32 v77, v98, v51
	v_fmac_f16_e32 v74, 0x38b4, v36
	v_fmac_f16_e32 v8, 0xb8b4, v36
	;; [unrolled: 1-line block ×12, first 2 shown]
	v_mul_f16_e32 v53, 0x38b4, v83
	v_fmac_f16_e32 v73, 0x38b4, v35
	v_fmac_f16_e32 v15, 0xb8b4, v35
	v_and_b32_e32 v35, 0xff, v88
	v_sub_nc_u16 v88, v59, v103
	v_fmac_f16_e32 v62, 0x34f2, v104
	v_fmac_f16_e32 v33, 0x34f2, v108
	v_mul_f16_e32 v54, 0x38b4, v86
	v_mul_f16_e32 v60, 0xb8b4, v68
	v_add_f16_e64 v118, v91, v130
	v_fmac_f16_e32 v84, 0x34f2, v9
	v_fmac_f16_e32 v11, 0x34f2, v9
	;; [unrolled: 1-line block ×5, first 2 shown]
	v_pk_add_f16 v9, v69, v72
	v_pk_add_f16 v10, v69, v72 neg_lo:[0,1] neg_hi:[0,1]
	v_fmac_f16_e32 v38, 0x3a79, v68
	v_mul_f16_e32 v68, 0xbb9c, v67
	v_mul_f16_e32 v67, 0x34f2, v67
	;; [unrolled: 1-line block ×5, first 2 shown]
	v_fmac_f16_e32 v87, 0x34f2, v71
	v_fmac_f16_e32 v22, 0x34f2, v71
	v_mul_f16_e32 v71, 0xba79, v112
	v_add_f16_e64 v120, v94, v131
	v_pk_add_f16 v52, v66, v76
	v_pk_add_f16 v66, v66, v76 neg_lo:[0,1] neg_hi:[0,1]
	v_fmac_f16_e32 v74, 0x34f2, v77
	v_fmac_f16_e32 v8, 0x34f2, v77
	;; [unrolled: 1-line block ×5, first 2 shown]
	v_mul_f16_e32 v64, 0xb8b4, v64
	v_mul_f16_e32 v72, 0xbb9c, v57
	;; [unrolled: 1-line block ×8, first 2 shown]
	v_add_nc_u32_e32 v51, 0xf3, v1
	v_and_b32_e32 v31, 0xff, v58
	v_and_b32_e32 v37, 0xff, v88
	v_fmac_f16_e32 v55, 0x34f2, v101
	v_fmac_f16_e32 v100, 0x34f2, v101
	v_mul_f16_e32 v34, 0xb4f2, v34
	v_mul_f16_e32 v88, 0xba79, v121
	v_fmac_f16_e32 v54, 0x3a79, v62
	v_mul_f16_e32 v62, 0xb8b4, v62
	v_mul_f16_e32 v61, 0x34f2, v61
	;; [unrolled: 1-line block ×4, first 2 shown]
	v_fmac_f16_e32 v60, 0x3a79, v79
	v_fmac_f16_e32 v73, 0x34f2, v109
	;; [unrolled: 1-line block ×19, first 2 shown]
	v_mul_u32_u24_e32 v7, 10, v1
	v_and_b32_e32 v32, 0xffff, v51
	v_mul_lo_u16 v90, 0xcd, v31
	v_fmac_f16_e32 v119, 0x34f2, v118
	v_fmac_f16_e32 v13, 0x34f2, v120
	v_add_f16_e32 v24, v74, v38
	v_sub_f16_e32 v26, v74, v38
	v_fmac_f16_e32 v34, 0x3b9c, v25
	v_fmac_f16_e32 v88, 0x38b4, v23
	;; [unrolled: 1-line block ×6, first 2 shown]
	v_add_f16_e32 v38, v107, v60
	v_add_f16_e32 v23, v78, v53
	v_sub_f16_e32 v25, v78, v53
	v_add_f16_e32 v21, v55, v54
	v_sub_f16_e32 v22, v55, v54
	v_sub_f16_e32 v53, v107, v60
	v_add_f16_e32 v54, v110, v68
	v_sub_f16_e32 v55, v110, v68
	v_add_f16_e32 v60, v20, v69
	;; [unrolled: 2-line block ×4, first 2 shown]
	v_add_f16_e32 v70, v15, v19
	v_sub_f16_e32 v15, v15, v19
	v_add_f16_e32 v19, v8, v71
	v_sub_f16_e32 v67, v73, v67
	v_sub_f16_e32 v8, v8, v71
	v_add_f16_e32 v71, v81, v64
	v_sub_f16_e32 v64, v81, v64
	v_add_f16_e32 v73, v80, v72
	;; [unrolled: 2-line block ×7, first 2 shown]
	v_sub_f16_e32 v11, v11, v102
	v_sub_f16_e32 v85, v100, v103
	v_lshl_add_u32 v7, v7, 2, 0
	v_mul_u32_u24_e32 v115, 0xcccd, v32
	v_lshrrev_b16 v36, 11, v90
	v_add_f16_e32 v65, v13, v34
	v_sub_f16_e32 v13, v13, v34
	v_add_f16_e32 v34, v119, v88
	v_sub_f16_e32 v78, v119, v88
	;; [unrolled: 2-line block ×6, first 2 shown]
	v_add_f16_e32 v33, v100, v103
	v_pack_b32_f16 v24, v38, v24
	v_pack_b32_f16 v38, v60, v70
	;; [unrolled: 1-line block ×10, first 2 shown]
	v_add_nc_u32_e32 v89, 0xca8, v7
	v_add_nc_u32_e32 v91, 0xcb0, v7
	;; [unrolled: 1-line block ×10, first 2 shown]
	v_pack_b32_f16 v18, v71, v23
	v_pack_b32_f16 v20, v74, v65
	;; [unrolled: 1-line block ×14, first 2 shown]
	ds_store_2addr_b32 v7, v56, v24 offset1:1
	ds_store_2addr_b32 v7, v54, v38 offset0:2 offset1:3
	ds_store_2addr_b32 v7, v19, v75 offset0:4 offset1:5
	;; [unrolled: 1-line block ×4, first 2 shown]
	ds_store_2addr_b32 v89, v52, v18 offset1:1
	ds_store_2addr_b32 v91, v23, v20 offset1:1
	;; [unrolled: 1-line block ×10, first 2 shown]
	v_mul_lo_u16 v11, v36, 10
	v_lshrrev_b32_e32 v38, 19, v115
	v_add_nc_u32_e32 v53, 0x144, v1
	v_lshlrev_b32_e32 v90, 3, v35
	v_add_nc_u32_e32 v52, 0x195, v1
	v_sub_nc_u16 v11, v58, v11
	v_mul_lo_u16 v12, v38, 10
	v_and_b32_e32 v34, 0xffff, v53
	global_wb scope:SCOPE_SE
	s_wait_dscnt 0x0
	s_barrier_signal -1
	s_barrier_wait -1
	global_inv scope:SCOPE_SE
	global_load_b64 v[9:10], v90, s[8:9]
	v_and_b32_e32 v64, 0xff, v11
	v_sub_nc_u16 v11, v51, v12
	v_and_b32_e32 v33, 0xffff, v52
	v_mul_u32_u24_e32 v12, 0xcccd, v34
	v_lshlrev_b32_e32 v7, 3, v37
	v_add_nc_u32_e32 v54, 0x1e6, v1
	v_and_b32_e32 v65, 0xffff, v11
	v_mul_u32_u24_e32 v11, 0xcccd, v33
	v_lshrrev_b32_e32 v69, 19, v12
	global_load_b64 v[7:8], v7, s[8:9]
	v_lshlrev_b32_e32 v13, 3, v64
	v_add_nc_u32_e32 v55, 0x237, v1
	v_lshrrev_b32_e32 v70, 19, v11
	v_mul_lo_u16 v15, v69, 10
	v_and_b32_e32 v61, 0xffff, v54
	global_load_b64 v[13:14], v13, s[8:9]
	v_and_b32_e32 v60, 0xffff, v55
	v_mul_lo_u16 v16, v70, 10
	v_sub_nc_u16 v15, v53, v15
	v_lshlrev_b32_e32 v12, 3, v65
	v_add_nc_u32_e32 v56, 0x288, v1
	v_mul_u32_u24_e32 v18, 0xcccd, v60
	v_add_nc_u32_e32 v57, 0x2d9, v1
	v_and_b32_e32 v71, 0xffff, v15
	v_sub_nc_u16 v15, v52, v16
	v_mul_u32_u24_e32 v16, 0xcccd, v61
	v_lshrrev_b32_e32 v74, 19, v18
	v_and_b32_e32 v63, 0xffff, v56
	v_lshlrev_b32_e32 v17, 3, v71
	v_and_b32_e32 v72, 0xffff, v15
	v_lshrrev_b32_e32 v73, 19, v16
	v_mul_lo_u16 v20, v74, 10
	v_and_b32_e32 v62, 0xffff, v57
	s_clause 0x1
	global_load_b64 v[15:16], v17, s[8:9]
	global_load_b64 v[11:12], v12, s[8:9]
	v_mul_lo_u16 v19, v73, 10
	v_lshlrev_b32_e32 v17, 3, v72
	v_mul_lo_u16 v27, 0x89, v27
	v_and_b32_e32 v29, 0xffff, v29
	v_lshlrev_b32_e32 v35, 2, v35
	v_sub_nc_u16 v19, v54, v19
	global_load_b64 v[17:18], v17, s[8:9]
	v_lshrrev_b16 v66, 12, v27
	v_mul_lo_u16 v27, 0x89, v28
	v_mul_lo_u16 v28, 0x89, v31
	v_and_b32_e32 v75, 0xffff, v19
	v_sub_nc_u16 v19, v55, v20
	v_mul_u32_u24_e32 v20, 0xcccd, v63
	v_lshrrev_b16 v67, 12, v27
	v_mul_u32_u24_e32 v27, 0x78, v29
	v_lshlrev_b32_e32 v21, 3, v75
	v_and_b32_e32 v76, 0xffff, v19
	v_lshrrev_b32_e32 v78, 19, v20
	v_mul_u32_u24_e32 v19, 0xcccd, v62
	v_mul_lo_u16 v82, v66, 30
	global_load_b64 v[21:22], v21, s[8:9]
	v_lshlrev_b32_e32 v20, 3, v76
	v_mul_lo_u16 v23, v78, 10
	v_lshrrev_b32_e32 v79, 19, v19
	v_and_b32_e32 v29, 0xffff, v36
	v_mul_u32_u24_e32 v36, 0x78, v38
	v_mul_u32_u24_e32 v70, 0x78, v70
	v_sub_nc_u16 v23, v56, v23
	v_mul_lo_u16 v24, v79, 10
	v_mul_u32_u24_e32 v83, 0x78, v73
	v_add3_u32 v35, 0, v27, v35
	v_lshlrev_b32_e32 v27, 2, v37
	v_and_b32_e32 v80, 0xffff, v23
	v_sub_nc_u16 v23, v57, v24
	v_lshlrev_b32_e32 v37, 2, v64
	v_lshlrev_b32_e32 v64, 2, v65
	;; [unrolled: 1-line block ×4, first 2 shown]
	v_and_b32_e32 v81, 0xffff, v23
	v_lshrrev_b16 v68, 12, v28
	v_and_b32_e32 v28, 0xffff, v30
	v_mul_u32_u24_e32 v38, 0x78, v69
	s_clause 0x1
	global_load_b64 v[23:24], v24, s[8:9]
	global_load_b64 v[19:20], v20, s[8:9]
	v_lshlrev_b32_e32 v25, 3, v81
	v_mul_u32_u24_e32 v84, 0x78, v74
	v_mul_u32_u24_e32 v85, 0x78, v78
	v_sub_nc_u16 v30, v1, v82
	v_lshlrev_b32_e32 v78, 2, v75
	global_load_b64 v[25:26], v25, s[8:9]
	v_lshlrev_b32_e32 v82, 2, v76
	v_add3_u32 v69, 0, v36, v64
	v_add3_u32 v36, 0, v70, v73
	ds_load_2addr_b32 v[73:74], v45 offset0:84 offset1:165
	ds_load_2addr_b32 v[75:76], v49 offset0:42 offset1:123
	v_mul_u32_u24_e32 v86, 0x78, v79
	v_mul_u32_u24_e32 v28, 0x78, v28
	v_mul_u32_u24_e32 v29, 0x78, v29
	v_lshlrev_b32_e32 v65, 2, v71
	v_lshlrev_b32_e32 v87, 2, v80
	;; [unrolled: 1-line block ×3, first 2 shown]
	v_add3_u32 v72, 0, v28, v27
	v_add3_u32 v71, 0, v29, v37
	;; [unrolled: 1-line block ×4, first 2 shown]
	ds_load_2addr_b32 v[78:79], v44 offset0:76 offset1:157
	ds_load_2addr_b32 v[80:81], v50 offset0:118 offset1:199
	v_add3_u32 v70, 0, v84, v82
	v_add3_u32 v64, 0, v85, v87
	ds_load_2addr_b32 v[82:83], v41 offset0:110 offset1:191
	v_add3_u32 v65, 0, v86, v88
	ds_load_2addr_b32 v[84:85], v43 offset0:152 offset1:233
	ds_load_u16 v29, v0 offset:3242
	ds_load_2addr_b32 v[86:87], v46 offset0:16 offset1:97
	ds_load_2addr_b32 v[88:89], v42 offset0:58 offset1:139
	;; [unrolled: 1-line block ×4, first 2 shown]
	ds_load_2addr_b32 v[94:95], v0 offset1:81
	ds_load_2addr_b32 v[96:97], v0 offset0:162 offset1:243
	ds_load_2addr_b32 v[98:99], v48 offset0:68 offset1:149
	;; [unrolled: 1-line block ×4, first 2 shown]
	v_mul_lo_u16 v102, v67, 30
	v_mul_u32_u24_e32 v77, 0x8889, v32
	s_wait_dscnt 0xf
	v_lshrrev_b32_e32 v103, 16, v73
	v_lshrrev_b32_e32 v105, 16, v74
	s_wait_dscnt 0xe
	v_lshrrev_b32_e32 v104, 16, v76
	v_sub_nc_u16 v102, v59, v102
	v_and_b32_e32 v30, 0xff, v30
	global_wb scope:SCOPE_SE
	s_wait_loadcnt_dscnt 0x0
	s_barrier_signal -1
	v_lshrrev_b32_e32 v112, 16, v84
	v_lshrrev_b32_e32 v115, 16, v85
	s_barrier_wait -1
	global_inv scope:SCOPE_SE
	v_lshrrev_b32_e32 v106, 16, v78
	v_lshrrev_b32_e32 v107, 16, v80
	;; [unrolled: 1-line block ×6, first 2 shown]
	v_and_b32_e32 v66, 0xffff, v66
	s_delay_alu instid0(VALU_DEP_1) | instskip(SKIP_2) | instid1(VALU_DEP_2)
	v_mul_u32_u24_e32 v66, 0x168, v66
	v_lshrrev_b32_e32 v111, 16, v9
	v_lshrrev_b32_e32 v113, 16, v10
	v_mul_f16_e32 v116, v111, v75
	s_delay_alu instid0(VALU_DEP_2) | instskip(SKIP_2) | instid1(VALU_DEP_4)
	v_mul_f16_e32 v118, v73, v113
	v_mul_f16_e32 v111, v29, v111
	;; [unrolled: 1-line block ×3, first 2 shown]
	v_fma_f16 v29, v29, v9, -v116
	v_lshrrev_b32_e32 v116, 16, v8
	v_lshrrev_b32_e32 v117, 16, v7
	s_delay_alu instid0(VALU_DEP_4)
	v_fmac_f16_e32 v113, v73, v10
	v_fma_f16 v103, v103, v10, -v118
	v_fmac_f16_e32 v111, v9, v75
	v_mul_f16_e32 v73, v105, v116
	v_mul_f16_e32 v118, v104, v117
	;; [unrolled: 1-line block ×4, first 2 shown]
	v_lshrrev_b32_e32 v117, 16, v14
	v_fmac_f16_e32 v73, v74, v8
	v_lshrrev_b32_e32 v74, 16, v13
	v_fmac_f16_e32 v118, v76, v7
	v_fma_f16 v7, v104, v7, -v10
	v_fma_f16 v8, v105, v8, -v116
	v_mul_f16_e32 v116, v80, v117
	v_mul_f16_e32 v104, v78, v74
	;; [unrolled: 1-line block ×4, first 2 shown]
	v_lshrrev_b32_e32 v9, 16, v86
	v_fma_f16 v107, v107, v14, -v116
	v_fma_f16 v104, v106, v13, -v104
	v_fmac_f16_e32 v74, v78, v13
	v_fmac_f16_e32 v117, v80, v14
	v_lshrrev_b32_e32 v106, 16, v12
	v_lshrrev_b32_e32 v105, 16, v11
	;; [unrolled: 1-line block ×5, first 2 shown]
	v_mul_f16_e32 v78, v109, v106
	v_mul_f16_e32 v116, v108, v105
	;; [unrolled: 1-line block ×4, first 2 shown]
	v_lshrrev_b32_e32 v106, 16, v16
	v_fmac_f16_e32 v78, v81, v12
	v_lshrrev_b32_e32 v81, 16, v15
	v_fmac_f16_e32 v116, v79, v11
	v_fma_f16 v12, v109, v12, -v105
	v_fma_f16 v11, v108, v11, -v14
	v_lshrrev_b32_e32 v108, 16, v17
	v_mul_f16_e32 v105, v82, v81
	v_mul_f16_e32 v81, v110, v81
	;; [unrolled: 1-line block ×4, first 2 shown]
	v_lshrrev_b32_e32 v13, 16, v90
	v_fma_f16 v105, v110, v15, -v105
	v_lshrrev_b32_e32 v110, 16, v18
	v_fmac_f16_e32 v81, v82, v15
	v_fma_f16 v109, v112, v16, -v109
	v_mul_f16_e32 v112, v114, v108
	v_fmac_f16_e32 v106, v84, v16
	v_mul_f16_e32 v82, v115, v110
	v_mul_f16_e32 v16, v83, v108
	;; [unrolled: 1-line block ×3, first 2 shown]
	v_lshrrev_b32_e32 v110, 16, v22
	v_lshrrev_b32_e32 v79, 16, v92
	v_fmac_f16_e32 v82, v85, v18
	v_lshrrev_b32_e32 v85, 16, v21
	v_fma_f16 v18, v115, v18, -v108
	v_fma_f16 v16, v114, v17, -v16
	v_mul_f16_e32 v115, v88, v110
	v_mul_f16_e32 v110, v75, v110
	;; [unrolled: 1-line block ×4, first 2 shown]
	v_lshrrev_b32_e32 v14, 16, v93
	v_fma_f16 v75, v75, v22, -v115
	v_fmac_f16_e32 v110, v88, v22
	v_fma_f16 v9, v9, v21, -v108
	v_lshrrev_b32_e32 v108, 16, v20
	v_fmac_f16_e32 v85, v86, v21
	v_lshrrev_b32_e32 v114, 16, v19
	v_lshrrev_b32_e32 v80, 16, v91
	;; [unrolled: 1-line block ×3, first 2 shown]
	v_mul_f16_e32 v86, v10, v108
	v_mul_f16_e32 v108, v89, v108
	;; [unrolled: 1-line block ×4, first 2 shown]
	v_lshrrev_b32_e32 v114, 16, v24
	v_fmac_f16_e32 v86, v89, v20
	v_lshrrev_b32_e32 v89, 16, v23
	v_fma_f16 v10, v10, v20, -v108
	v_fmac_f16_e32 v115, v87, v19
	v_fma_f16 v19, v76, v19, -v22
	v_lshrrev_b32_e32 v76, 16, v25
	v_mul_f16_e32 v20, v90, v89
	v_mul_f16_e32 v89, v13, v89
	;; [unrolled: 1-line block ×4, first 2 shown]
	v_fmac_f16_e32 v112, v83, v17
	v_fma_f16 v13, v13, v23, -v20
	v_lshrrev_b32_e32 v20, 16, v26
	v_fmac_f16_e32 v89, v90, v23
	v_fma_f16 v79, v79, v24, -v108
	v_mul_f16_e32 v108, v80, v76
	v_fmac_f16_e32 v114, v92, v24
	v_mul_f16_e32 v23, v14, v20
	v_mul_f16_e32 v20, v93, v20
	;; [unrolled: 1-line block ×3, first 2 shown]
	v_lshrrev_b32_e32 v83, 16, v94
	v_lshrrev_b32_e32 v84, 16, v97
	v_fmac_f16_e32 v108, v91, v25
	v_fma_f16 v14, v14, v26, -v20
	v_add_f16_e32 v20, v118, v73
	v_fmac_f16_e32 v23, v93, v26
	v_fma_f16 v24, v80, v25, -v24
	v_add_f16_e32 v25, v95, v118
	v_add_f16_e32 v26, v7, v8
	;; [unrolled: 1-line block ×4, first 2 shown]
	v_fmac_f16_e32 v95, -0.5, v20
	v_add_f16_e32 v20, v11, v12
	v_lshrrev_b32_e32 v17, 16, v96
	v_lshrrev_b32_e32 v21, 16, v98
	;; [unrolled: 1-line block ×3, first 2 shown]
	v_sub_f16_e32 v7, v7, v8
	v_add_f16_e32 v91, v111, v113
	v_add_f16_e32 v93, v116, v78
	v_fmac_f16_e32 v15, -0.5, v26
	v_add_f16_e32 v26, v84, v11
	v_fmac_f16_e32 v84, -0.5, v20
	v_add_f16_e32 v20, v83, v29
	v_sub_f16_e32 v111, v111, v113
	v_add_f16_e32 v92, v92, v113
	v_add_f16_e32 v113, v29, v103
	v_sub_f16_e32 v119, v29, v103
	v_add_f16_e32 v29, v96, v74
	v_add_f16_e32 v8, v80, v8
	;; [unrolled: 1-line block ×3, first 2 shown]
	v_lshrrev_b32_e32 v88, 16, v100
	v_sub_f16_e32 v90, v118, v73
	v_add_f16_e32 v118, v97, v116
	v_sub_f16_e32 v11, v11, v12
	v_fmac_f16_e32 v97, -0.5, v93
	v_add_f16_e32 v93, v74, v117
	v_add_f16_e32 v20, v20, v103
	v_sub_f16_e32 v74, v74, v117
	v_fmac_f16_e32 v83, -0.5, v113
	v_add_f16_e32 v103, v17, v104
	v_add_f16_e32 v25, v25, v73
	;; [unrolled: 1-line block ×5, first 2 shown]
	v_sub_f16_e32 v81, v81, v106
	v_add_f16_e32 v29, v21, v105
	v_add_f16_e32 v12, v26, v12
	;; [unrolled: 1-line block ×5, first 2 shown]
	v_lshrrev_b32_e32 v22, 16, v101
	v_sub_f16_e32 v104, v104, v107
	v_add_f16_e32 v103, v103, v107
	v_fmac_f16_e32 v17, -0.5, v73
	v_add_f16_e32 v73, v105, v109
	v_sub_f16_e32 v105, v105, v109
	v_add_f16_e32 v107, v99, v112
	v_add_f16_e32 v109, v29, v109
	;; [unrolled: 1-line block ×3, first 2 shown]
	v_sub_f16_e32 v16, v16, v18
	v_fmac_f16_e32 v99, -0.5, v26
	v_add_f16_e32 v26, v88, v9
	v_add_f16_e32 v18, v106, v18
	;; [unrolled: 1-line block ×3, first 2 shown]
	v_lshrrev_b32_e32 v76, 16, v27
	v_fmac_f16_e32 v21, -0.5, v73
	v_add_f16_e32 v73, v100, v85
	v_sub_f16_e32 v9, v9, v75
	v_fmac_f16_e32 v87, -0.5, v29
	v_add_f16_e32 v29, v101, v115
	v_add_f16_e32 v26, v26, v75
	v_add_f16_e32 v75, v22, v19
	v_fmac_f16_e32 v88, -0.5, v106
	v_add_f16_e32 v106, v19, v10
	v_sub_f16_e32 v112, v112, v82
	v_add_f16_e32 v82, v107, v82
	v_add_f16_e32 v107, v85, v110
	v_sub_f16_e32 v85, v85, v110
	v_add_f16_e32 v73, v73, v110
	v_add_f16_e32 v110, v115, v86
	v_sub_f16_e32 v115, v115, v86
	v_sub_f16_e32 v19, v19, v10
	v_add_f16_e32 v86, v29, v86
	v_add_f16_e32 v29, v27, v89
	;; [unrolled: 1-line block ×4, first 2 shown]
	v_fmac_f16_e32 v22, -0.5, v106
	v_add_f16_e32 v106, v13, v79
	v_fmac_f16_e32 v101, -0.5, v110
	v_add_f16_e32 v110, v89, v114
	v_sub_f16_e32 v89, v89, v114
	v_sub_f16_e32 v13, v13, v79
	v_add_f16_e32 v114, v29, v114
	v_add_f16_e32 v29, v28, v108
	;; [unrolled: 1-line block ×3, first 2 shown]
	v_lshrrev_b32_e32 v79, 16, v28
	v_fmac_f16_e32 v76, -0.5, v106
	v_add_f16_e32 v106, v108, v23
	v_sub_f16_e32 v108, v108, v23
	v_add_f16_e32 v23, v29, v23
	v_add_f16_e32 v29, v79, v24
	v_fma_f16 v91, -0.5, v91, v94
	v_fmac_f16_e32 v28, -0.5, v106
	v_add_f16_e32 v106, v24, v14
	v_sub_f16_e32 v116, v116, v78
	v_fma_f16 v93, -0.5, v93, v96
	v_sub_f16_e32 v24, v24, v14
	v_add_f16_e32 v14, v29, v14
	v_and_b32_e32 v29, 0xff, v102
	v_fmac_f16_e32 v79, -0.5, v106
	v_fma_f16 v94, -0.5, v117, v98
	v_fma_f16 v96, -0.5, v107, v100
	v_fma_f16 v27, -0.5, v110, v27
	v_fmamk_f16 v100, v119, 0xbaee, v91
	v_fmamk_f16 v102, v111, 0x3aee, v83
	v_add_f16_e32 v78, v118, v78
	v_fmac_f16_e32 v91, 0x3aee, v119
	v_fmac_f16_e32 v83, 0xbaee, v111
	v_fmamk_f16 v98, v7, 0xbaee, v95
	v_fmac_f16_e32 v95, 0x3aee, v7
	v_fmamk_f16 v7, v90, 0x3aee, v15
	v_fmac_f16_e32 v15, 0xbaee, v90
	v_fmamk_f16 v90, v11, 0xbaee, v97
	v_fmac_f16_e32 v97, 0x3aee, v11
	v_fmamk_f16 v11, v116, 0x3aee, v84
	v_fmamk_f16 v106, v104, 0xbaee, v93
	v_fmac_f16_e32 v93, 0x3aee, v104
	v_fmamk_f16 v104, v74, 0x3aee, v17
	v_fmac_f16_e32 v84, 0xbaee, v116
	v_fmac_f16_e32 v17, 0xbaee, v74
	v_fmamk_f16 v74, v105, 0xbaee, v94
	v_fmac_f16_e32 v94, 0x3aee, v105
	v_fmamk_f16 v105, v81, 0x3aee, v21
	;; [unrolled: 2-line block ×12, first 2 shown]
	v_fmac_f16_e32 v79, 0xbaee, v108
	v_pack_b32_f16 v20, v92, v20
	v_pack_b32_f16 v26, v73, v26
	;; [unrolled: 1-line block ×30, first 2 shown]
	ds_store_2addr_b32 v35, v20, v75 offset1:10
	ds_store_b32 v35, v80 offset:80
	ds_store_2addr_b32 v72, v8, v7 offset1:10
	ds_store_b32 v72, v15 offset:80
	;; [unrolled: 2-line block ×10, first 2 shown]
	v_mul_lo_u16 v11, v68, 30
	v_lshrrev_b32_e32 v75, 20, v77
	v_lshlrev_b32_e32 v118, 3, v30
	global_wb scope:SCOPE_SE
	s_wait_dscnt 0x0
	s_barrier_signal -1
	v_sub_nc_u16 v11, v58, v11
	v_mul_lo_u16 v12, v75, 30
	s_barrier_wait -1
	global_inv scope:SCOPE_SE
	global_load_b64 v[9:10], v118, s[8:9] offset:80
	v_and_b32_e32 v27, 0xff, v11
	v_sub_nc_u16 v11, v51, v12
	v_mul_u32_u24_e32 v12, 0x8889, v34
	v_lshlrev_b32_e32 v7, 3, v29
	v_mul_u32_u24_e32 v18, 0x8889, v60
	v_lshlrev_b32_e32 v13, 3, v27
	v_and_b32_e32 v28, 0xffff, v11
	v_lshrrev_b32_e32 v76, 20, v12
	global_load_b64 v[7:8], v7, s[8:9] offset:80
	v_mul_u32_u24_e32 v11, 0x8889, v33
	global_load_b64 v[13:14], v13, s[8:9] offset:80
	v_lshlrev_b32_e32 v12, 3, v28
	v_mul_lo_u16 v15, v76, 30
	v_lshrrev_b32_e32 v35, 20, v18
	v_lshrrev_b32_e32 v77, 20, v11
	v_mul_u32_u24_e32 v22, 0x8889, v62
	v_and_b32_e32 v73, 0xffff, v67
	v_sub_nc_u16 v15, v53, v15
	v_mul_lo_u16 v20, v35, 30
	v_mul_lo_u16 v16, v77, 30
	v_lshrrev_b32_e32 v38, 20, v22
	v_and_b32_e32 v74, 0xffff, v68
	v_and_b32_e32 v69, 0xffff, v15
	v_mul_u32_u24_e32 v67, 0x168, v75
	v_sub_nc_u16 v15, v52, v16
	v_mul_u32_u24_e32 v16, 0x8889, v61
	v_lshlrev_b32_e32 v75, 2, v30
	v_lshlrev_b32_e32 v17, 3, v69
	v_mul_u32_u24_e32 v68, 0x168, v76
	v_and_b32_e32 v70, 0xffff, v15
	v_lshrrev_b32_e32 v71, 20, v16
	v_mul_u32_u24_e32 v30, 0x168, v77
	s_clause 0x1
	global_load_b64 v[15:16], v17, s[8:9] offset:80
	global_load_b64 v[11:12], v12, s[8:9] offset:80
	v_lshlrev_b32_e32 v17, 3, v70
	v_mul_lo_u16 v19, v71, 30
	v_mul_u32_u24_e32 v93, 0x168, v71
	v_mul_u32_u24_e32 v71, 0x168, v73
	;; [unrolled: 1-line block ×3, first 2 shown]
	global_load_b64 v[17:18], v17, s[8:9] offset:80
	v_sub_nc_u16 v19, v54, v19
	v_add3_u32 v94, 0, v66, v75
	v_lshlrev_b32_e32 v29, 2, v29
	v_lshlrev_b32_e32 v27, 2, v27
	;; [unrolled: 1-line block ×3, first 2 shown]
	v_and_b32_e32 v72, 0xffff, v19
	v_sub_nc_u16 v19, v55, v20
	v_mul_u32_u24_e32 v20, 0x8889, v63
	v_lshlrev_b32_e32 v66, 2, v69
	v_lshlrev_b32_e32 v69, 2, v70
	;; [unrolled: 1-line block ×3, first 2 shown]
	v_and_b32_e32 v36, 0xffff, v19
	v_lshrrev_b32_e32 v37, 20, v20
	v_lshlrev_b32_e32 v95, 2, v72
	v_add3_u32 v96, 0, v71, v29
	global_load_b64 v[19:20], v21, s[8:9] offset:80
	v_lshlrev_b32_e32 v21, 3, v36
	v_mul_lo_u16 v22, v37, 30
	v_add3_u32 v97, 0, v73, v27
	v_add3_u32 v98, 0, v67, v28
	;; [unrolled: 1-line block ×3, first 2 shown]
	global_load_b64 v[25:26], v21, s[8:9] offset:80
	v_mul_lo_u16 v21, v38, 30
	v_sub_nc_u16 v22, v56, v22
	v_add3_u32 v66, 0, v30, v69
	s_delay_alu instid0(VALU_DEP_3) | instskip(NEXT) | instid1(VALU_DEP_3)
	v_sub_nc_u16 v21, v57, v21
	v_and_b32_e32 v65, 0xffff, v22
	s_delay_alu instid0(VALU_DEP_2) | instskip(NEXT) | instid1(VALU_DEP_2)
	v_and_b32_e32 v64, 0xffff, v21
	v_lshlrev_b32_e32 v21, 3, v65
	s_delay_alu instid0(VALU_DEP_2)
	v_lshlrev_b32_e32 v23, 3, v64
	s_clause 0x1
	global_load_b64 v[21:22], v21, s[8:9] offset:80
	global_load_b64 v[23:24], v23, s[8:9] offset:80
	ds_load_2addr_b32 v[67:68], v45 offset0:84 offset1:165
	ds_load_2addr_b32 v[69:70], v49 offset0:42 offset1:123
	ds_load_u16 v100, v0 offset:3566
	ds_load_2addr_b32 v[71:72], v44 offset0:76 offset1:157
	ds_load_2addr_b32 v[73:74], v50 offset0:118 offset1:199
	;; [unrolled: 1-line block ×8, first 2 shown]
	ds_load_2addr_b32 v[87:88], v0 offset1:81
	ds_load_2addr_b32 v[89:90], v0 offset0:162 offset1:243
	ds_load_2addr_b32 v[91:92], v48 offset0:68 offset1:149
	;; [unrolled: 1-line block ×4, first 2 shown]
	global_wb scope:SCOPE_SE
	s_wait_loadcnt_dscnt 0x0
	s_barrier_signal -1
	s_barrier_wait -1
	global_inv scope:SCOPE_SE
	v_lshrrev_b32_e32 v103, 16, v67
	v_lshrrev_b32_e32 v102, 16, v69
	;; [unrolled: 1-line block ×15, first 2 shown]
	s_delay_alu instid0(VALU_DEP_2) | instskip(NEXT) | instid1(VALU_DEP_2)
	v_mul_f16_e32 v116, v111, v69
	v_mul_f16_e32 v118, v113, v67
	;; [unrolled: 1-line block ×4, first 2 shown]
	v_lshrrev_b32_e32 v117, 16, v7
	v_fma_f16 v102, v9, v102, -v116
	v_lshrrev_b32_e32 v116, 16, v8
	v_fma_f16 v103, v10, v103, -v118
	v_fmac_f16_e32 v113, v10, v67
	v_mul_f16_e32 v118, v100, v117
	v_mul_f16_e32 v10, v117, v70
	;; [unrolled: 1-line block ×4, first 2 shown]
	v_lshrrev_b32_e32 v117, 16, v14
	v_fmac_f16_e32 v118, v7, v70
	v_fma_f16 v7, v100, v7, -v10
	v_fmac_f16_e32 v67, v68, v8
	v_lshrrev_b32_e32 v68, 16, v13
	v_fma_f16 v8, v101, v8, -v116
	v_mul_f16_e32 v116, v73, v117
	v_mul_f16_e32 v117, v105, v117
	v_fmac_f16_e32 v111, v9, v69
	v_mul_f16_e32 v100, v71, v68
	v_mul_f16_e32 v68, v104, v68
	v_fma_f16 v105, v105, v14, -v116
	v_fmac_f16_e32 v117, v73, v14
	v_lshrrev_b32_e32 v69, 16, v82
	v_fma_f16 v100, v104, v13, -v100
	v_fmac_f16_e32 v68, v71, v13
	v_lshrrev_b32_e32 v104, 16, v12
	v_lshrrev_b32_e32 v101, 16, v11
	;; [unrolled: 1-line block ×5, first 2 shown]
	v_mul_f16_e32 v71, v107, v104
	v_mul_f16_e32 v116, v106, v101
	v_mul_f16_e32 v14, v72, v101
	v_mul_f16_e32 v101, v74, v104
	v_lshrrev_b32_e32 v104, 16, v16
	v_fmac_f16_e32 v71, v74, v12
	v_lshrrev_b32_e32 v74, 16, v15
	v_fmac_f16_e32 v116, v72, v11
	v_fma_f16 v12, v107, v12, -v101
	v_fma_f16 v11, v106, v11, -v14
	v_lshrrev_b32_e32 v106, 16, v17
	v_mul_f16_e32 v101, v75, v74
	v_mul_f16_e32 v74, v108, v74
	;; [unrolled: 1-line block ×4, first 2 shown]
	v_lshrrev_b32_e32 v13, 16, v84
	v_fma_f16 v101, v108, v15, -v101
	v_lshrrev_b32_e32 v108, 16, v18
	v_fmac_f16_e32 v74, v75, v15
	v_fma_f16 v107, v109, v16, -v107
	v_mul_f16_e32 v109, v110, v106
	v_fmac_f16_e32 v104, v77, v16
	v_mul_f16_e32 v75, v112, v108
	v_mul_f16_e32 v16, v76, v106
	;; [unrolled: 1-line block ×3, first 2 shown]
	v_lshrrev_b32_e32 v108, 16, v20
	v_lshrrev_b32_e32 v72, 16, v86
	v_fmac_f16_e32 v75, v78, v18
	v_lshrrev_b32_e32 v78, 16, v19
	v_fma_f16 v18, v112, v18, -v106
	v_fma_f16 v16, v110, v17, -v16
	v_lshrrev_b32_e32 v110, 16, v25
	v_mul_f16_e32 v112, v81, v108
	v_mul_f16_e32 v106, v79, v78
	;; [unrolled: 1-line block ×4, first 2 shown]
	v_lshrrev_b32_e32 v73, 16, v88
	v_fma_f16 v112, v115, v20, -v112
	v_fma_f16 v106, v114, v19, -v106
	v_lshrrev_b32_e32 v114, 16, v26
	v_fmac_f16_e32 v78, v79, v19
	v_mul_f16_e32 v115, v9, v110
	v_fmac_f16_e32 v108, v81, v20
	v_mul_f16_e32 v20, v80, v110
	v_mul_f16_e32 v79, v69, v114
	;; [unrolled: 1-line block ×3, first 2 shown]
	v_lshrrev_b32_e32 v114, 16, v22
	v_fmac_f16_e32 v115, v80, v25
	v_fma_f16 v9, v9, v25, -v20
	v_fmac_f16_e32 v79, v82, v26
	v_lshrrev_b32_e32 v82, 16, v21
	v_lshrrev_b32_e32 v20, 16, v23
	v_fma_f16 v25, v69, v26, -v110
	v_lshrrev_b32_e32 v69, 16, v24
	v_mul_f16_e32 v110, v85, v114
	v_mul_f16_e32 v26, v83, v82
	v_mul_f16_e32 v82, v70, v82
	v_mul_f16_e32 v114, v10, v114
	v_fmac_f16_e32 v109, v76, v17
	v_fma_f16 v10, v10, v22, -v110
	v_fma_f16 v26, v70, v21, -v26
	v_mul_f16_e32 v70, v13, v20
	v_mul_f16_e32 v20, v84, v20
	;; [unrolled: 1-line block ×4, first 2 shown]
	v_fmac_f16_e32 v114, v85, v22
	v_fmac_f16_e32 v70, v84, v23
	v_fma_f16 v13, v13, v23, -v20
	v_fmac_f16_e32 v110, v86, v24
	v_fma_f16 v20, v72, v24, -v69
	v_add_f16_e32 v24, v7, v8
	v_add_f16_e32 v84, v87, v111
	;; [unrolled: 1-line block ×3, first 2 shown]
	v_lshrrev_b32_e32 v14, 16, v87
	v_lshrrev_b32_e32 v15, 16, v90
	;; [unrolled: 1-line block ×3, first 2 shown]
	v_fmac_f16_e32 v82, v83, v21
	v_add_f16_e32 v22, v118, v67
	v_add_f16_e32 v23, v88, v118
	;; [unrolled: 1-line block ×3, first 2 shown]
	v_sub_f16_e32 v72, v118, v67
	v_add_f16_e32 v83, v111, v113
	v_add_f16_e32 v86, v90, v116
	;; [unrolled: 1-line block ×3, first 2 shown]
	v_fmac_f16_e32 v73, -0.5, v24
	v_add_f16_e32 v24, v109, v75
	v_fmac_f16_e32 v90, -0.5, v85
	v_add_f16_e32 v85, v16, v18
	v_sub_f16_e32 v111, v111, v113
	v_add_f16_e32 v84, v84, v113
	v_add_f16_e32 v113, v102, v103
	v_lshrrev_b32_e32 v76, 16, v89
	v_fmac_f16_e32 v88, -0.5, v22
	v_add_f16_e32 v22, v15, v11
	v_fmac_f16_e32 v15, -0.5, v118
	v_add_f16_e32 v118, v92, v109
	;; [unrolled: 2-line block ×5, first 2 shown]
	v_lshrrev_b32_e32 v17, 16, v91
	v_sub_f16_e32 v7, v7, v8
	v_sub_f16_e32 v102, v102, v103
	v_add_f16_e32 v85, v85, v103
	v_add_f16_e32 v103, v68, v117
	;; [unrolled: 1-line block ×4, first 2 shown]
	v_sub_f16_e32 v68, v68, v117
	v_add_f16_e32 v113, v113, v117
	v_add_f16_e32 v117, v100, v105
	v_lshrrev_b32_e32 v19, 16, v29
	v_lshrrev_b32_e32 v80, 16, v30
	v_sub_f16_e32 v11, v11, v12
	v_sub_f16_e32 v116, v116, v71
	;; [unrolled: 1-line block ×3, first 2 shown]
	v_add_f16_e32 v69, v69, v105
	v_add_f16_e32 v105, v91, v74
	v_fmac_f16_e32 v76, -0.5, v117
	v_add_f16_e32 v117, v17, v101
	v_add_f16_e32 v71, v86, v71
	;; [unrolled: 1-line block ×5, first 2 shown]
	v_lshrrev_b32_e32 v81, 16, v27
	v_sub_f16_e32 v16, v16, v18
	v_add_f16_e32 v23, v23, v67
	v_add_f16_e32 v67, v74, v104
	v_sub_f16_e32 v74, v74, v104
	v_sub_f16_e32 v101, v101, v107
	v_add_f16_e32 v104, v105, v104
	v_add_f16_e32 v105, v78, v108
	v_sub_f16_e32 v78, v78, v108
	v_add_f16_e32 v107, v117, v107
	v_add_f16_e32 v117, v19, v106
	v_fmac_f16_e32 v17, -0.5, v86
	v_add_f16_e32 v86, v106, v112
	v_add_f16_e32 v18, v24, v18
	;; [unrolled: 1-line block ×5, first 2 shown]
	v_lshrrev_b32_e32 v21, 16, v28
	v_sub_f16_e32 v109, v109, v75
	v_sub_f16_e32 v106, v106, v112
	v_add_f16_e32 v75, v118, v75
	v_add_f16_e32 v118, v30, v115
	;; [unrolled: 1-line block ×4, first 2 shown]
	v_sub_f16_e32 v9, v9, v25
	v_fmac_f16_e32 v19, -0.5, v86
	v_add_f16_e32 v86, v27, v82
	v_fmac_f16_e32 v30, -0.5, v24
	v_add_f16_e32 v24, v81, v26
	v_add_f16_e32 v25, v108, v25
	;; [unrolled: 1-line block ×3, first 2 shown]
	v_sub_f16_e32 v115, v115, v79
	v_add_f16_e32 v79, v118, v79
	v_add_f16_e32 v118, v82, v114
	v_sub_f16_e32 v82, v82, v114
	v_sub_f16_e32 v26, v26, v10
	v_add_f16_e32 v86, v86, v114
	v_add_f16_e32 v114, v70, v110
	;; [unrolled: 1-line block ×4, first 2 shown]
	v_fmac_f16_e32 v81, -0.5, v108
	v_add_f16_e32 v108, v13, v20
	v_fma_f16 v83, -0.5, v83, v87
	v_fma_f16 v87, -0.5, v103, v89
	v_fmac_f16_e32 v80, -0.5, v117
	v_add_f16_e32 v117, v28, v70
	v_sub_f16_e32 v70, v70, v110
	v_sub_f16_e32 v13, v13, v20
	v_fma_f16 v67, -0.5, v67, v91
	v_fmac_f16_e32 v28, -0.5, v114
	v_add_f16_e32 v20, v24, v20
	v_fmac_f16_e32 v21, -0.5, v108
	v_fma_f16 v24, -0.5, v105, v29
	v_fma_f16 v27, -0.5, v118, v27
	v_fmamk_f16 v103, v102, 0xbaee, v83
	v_fmac_f16_e32 v83, 0x3aee, v102
	v_fmamk_f16 v102, v111, 0x3aee, v14
	v_fmac_f16_e32 v14, 0xbaee, v111
	;; [unrolled: 2-line block ×5, first 2 shown]
	v_fmamk_f16 v16, v109, 0x3aee, v77
	v_fmamk_f16 v72, v11, 0xbaee, v90
	v_fmac_f16_e32 v90, 0x3aee, v11
	v_fmamk_f16 v11, v116, 0x3aee, v15
	v_fmac_f16_e32 v15, 0xbaee, v116
	v_fmac_f16_e32 v77, 0xbaee, v109
	v_fmamk_f16 v105, v100, 0xbaee, v87
	v_fmac_f16_e32 v87, 0x3aee, v100
	v_fmamk_f16 v100, v68, 0x3aee, v76
	;; [unrolled: 2-line block ×6, first 2 shown]
	v_fmamk_f16 v108, v26, 0xbaee, v27
	v_fmac_f16_e32 v27, 0x3aee, v26
	v_fmamk_f16 v26, v82, 0x3aee, v81
	v_fmac_f16_e32 v81, 0xbaee, v82
	;; [unrolled: 2-line block ×4, first 2 shown]
	v_pack_b32_f16 v70, v84, v85
	v_pack_b32_f16 v18, v75, v18
	;; [unrolled: 1-line block ×3, first 2 shown]
	v_fmac_f16_e32 v19, 0xbaee, v78
	v_pack_b32_f16 v14, v83, v14
	v_pack_b32_f16 v8, v23, v8
	v_pack_b32_f16 v7, v29, v7
	v_pack_b32_f16 v12, v71, v12
	v_pack_b32_f16 v71, v88, v73
	v_pack_b32_f16 v16, v91, v16
	v_pack_b32_f16 v23, v113, v69
	v_pack_b32_f16 v15, v90, v15
	v_pack_b32_f16 v73, v92, v77
	v_pack_b32_f16 v29, v105, v100
	v_pack_b32_f16 v11, v72, v11
	v_pack_b32_f16 v69, v104, v107
	v_pack_b32_f16 v76, v87, v76
	v_pack_b32_f16 v68, v68, v101
	v_pack_b32_f16 v17, v67, v17
	ds_store_2addr_b32 v94, v70, v75 offset1:30
	ds_store_b32 v94, v14 offset:240
	ds_store_2addr_b32 v96, v8, v7 offset1:30
	ds_store_b32 v96, v71 offset:240
	;; [unrolled: 2-line block ×5, first 2 shown]
	v_add3_u32 v7, 0, v93, v95
	v_pack_b32_f16 v8, v22, v112
	v_pack_b32_f16 v11, v74, v106
	v_mul_u32_u24_e32 v14, 0x168, v35
	v_lshlrev_b32_e32 v15, 2, v36
	v_fmamk_f16 v78, v9, 0xbaee, v30
	v_fmac_f16_e32 v30, 0x3aee, v9
	v_fmamk_f16 v9, v115, 0x3aee, v80
	v_pack_b32_f16 v12, v24, v19
	v_fmac_f16_e32 v80, 0xbaee, v115
	ds_store_2addr_b32 v66, v18, v16 offset1:30
	ds_store_b32 v66, v73 offset:240
	ds_store_2addr_b32 v7, v8, v11 offset1:30
	ds_store_b32 v7, v12 offset:240
	v_mul_u32_u24_e32 v11, 0x168, v37
	v_lshlrev_b32_e32 v12, 2, v65
	v_add_f16_e32 v89, v117, v110
	v_add3_u32 v7, 0, v14, v15
	v_mul_u32_u24_e32 v15, 0x168, v38
	v_lshlrev_b32_e32 v16, 2, v64
	v_pack_b32_f16 v8, v79, v25
	v_pack_b32_f16 v9, v78, v9
	;; [unrolled: 1-line block ×3, first 2 shown]
	v_add3_u32 v11, 0, v11, v12
	v_pack_b32_f16 v10, v86, v10
	v_pack_b32_f16 v12, v108, v26
	;; [unrolled: 1-line block ×3, first 2 shown]
	v_add3_u32 v15, 0, v15, v16
	v_pack_b32_f16 v16, v89, v20
	v_pack_b32_f16 v13, v82, v13
	ds_store_2addr_b32 v7, v8, v9 offset1:30
	ds_store_b32 v7, v14 offset:240
	ds_store_2addr_b32 v11, v10, v12 offset1:30
	ds_store_b32 v11, v17 offset:240
	ds_store_2addr_b32 v15, v16, v13 offset1:30
	v_dual_mov_b32 v8, 0 :: v_dual_add_nc_u32 v9, -9, v1
	v_pack_b32_f16 v10, v28, v21
	v_lshlrev_b32_e32 v7, 1, v1
	v_mul_lo_u16 v12, 0xb7, v31
	s_wait_alu 0xf1ff
	v_cndmask_b32_e64 v11, v9, v59, s0
	v_mov_b32_e32 v14, v8
	ds_store_b32 v15, v10 offset:240
	v_lshlrev_b64_e32 v[9:10], 2, v[7:8]
	v_lshrrev_b16 v12, 14, v12
	v_lshlrev_b32_e32 v13, 1, v11
	v_mul_u32_u24_e32 v15, 0x2d83, v32
	global_wb scope:SCOPE_SE
	s_wait_dscnt 0x0
	s_barrier_signal -1
	v_add_co_u32 v9, s0, s8, v9
	v_lshlrev_b64_e32 v[13:14], 2, v[13:14]
	s_wait_alu 0xf1ff
	v_add_co_ci_u32_e64 v10, s0, s9, v10, s0
	v_mul_lo_u16 v16, 0x5a, v12
	v_lshrrev_b32_e32 v73, 20, v15
	s_barrier_wait -1
	v_add_co_u32 v13, s0, s8, v13
	s_wait_alu 0xf1ff
	v_add_co_ci_u32_e64 v14, s0, s9, v14, s0
	global_inv scope:SCOPE_SE
	global_load_b64 v[21:22], v[9:10], off offset:320
	v_and_b32_e32 v12, 0xffff, v12
	global_load_b64 v[25:26], v[13:14], off offset:320
	v_sub_nc_u16 v13, v58, v16
	v_mul_lo_u16 v14, 0x5a, v73
	v_cmp_lt_u32_e64 s0, 8, v1
	v_lshlrev_b32_e32 v11, 2, v11
	v_mul_u32_u24_e32 v12, 0x438, v12
	v_and_b32_e32 v19, 0xff, v13
	v_sub_nc_u16 v13, v51, v14
	v_mul_u32_u24_e32 v14, 0x2d83, v34
	s_wait_alu 0xf1ff
	v_cndmask_b32_e64 v20, 0, 0x438, s0
	v_mul_u32_u24_e32 v73, 0x438, v73
	v_lshlrev_b32_e32 v15, 3, v19
	v_and_b32_e32 v75, 0xffff, v13
	v_lshrrev_b32_e32 v74, 20, v14
	v_mul_u32_u24_e32 v13, 0x2d83, v33
	v_lshlrev_b32_e32 v19, 2, v19
	global_load_b64 v[31:32], v15, s[8:9] offset:320
	v_lshlrev_b32_e32 v14, 3, v75
	v_add3_u32 v100, 0, v20, v11
	v_lshrrev_b32_e32 v64, 20, v13
	v_add3_u32 v77, 0, v12, v19
	v_lshlrev_b32_e32 v75, 2, v75
	global_load_b64 v[27:28], v14, s[8:9] offset:320
	v_mul_lo_u16 v15, 0x5a, v74
	v_mul_lo_u16 v14, 0x5a, v64
	v_mul_u32_u24_e32 v74, 0x438, v74
	v_add3_u32 v73, 0, v73, v75
	v_cmp_gt_u32_e64 s0, 27, v1
	v_sub_nc_u16 v13, v53, v15
	s_delay_alu instid0(VALU_DEP_1) | instskip(SKIP_2) | instid1(VALU_DEP_3)
	v_and_b32_e32 v76, 0xffff, v13
	v_sub_nc_u16 v13, v52, v14
	v_mul_u32_u24_e32 v14, 0x2d83, v61
	v_lshlrev_b32_e32 v15, 3, v76
	s_delay_alu instid0(VALU_DEP_3) | instskip(SKIP_1) | instid1(VALU_DEP_4)
	v_and_b32_e32 v65, 0xffff, v13
	v_mul_u32_u24_e32 v13, 0x2d83, v60
	v_lshrrev_b32_e32 v67, 20, v14
	v_lshlrev_b32_e32 v76, 2, v76
	global_load_b64 v[37:38], v15, s[8:9] offset:320
	v_lshlrev_b32_e32 v14, 3, v65
	v_lshrrev_b32_e32 v66, 20, v13
	v_mul_lo_u16 v13, 0x5a, v67
	global_load_b64 v[29:30], v14, s[8:9] offset:320
	v_mul_lo_u16 v14, 0x5a, v66
	v_sub_nc_u16 v13, v54, v13
	s_delay_alu instid0(VALU_DEP_2) | instskip(NEXT) | instid1(VALU_DEP_2)
	v_sub_nc_u16 v14, v55, v14
	v_and_b32_e32 v69, 0xffff, v13
	v_mul_u32_u24_e32 v13, 0x2d83, v63
	s_delay_alu instid0(VALU_DEP_3) | instskip(SKIP_1) | instid1(VALU_DEP_3)
	v_and_b32_e32 v68, 0xffff, v14
	v_mul_u32_u24_e32 v14, 0x2d83, v62
	v_lshrrev_b32_e32 v71, 20, v13
	s_delay_alu instid0(VALU_DEP_3) | instskip(NEXT) | instid1(VALU_DEP_3)
	v_lshlrev_b32_e32 v13, 3, v68
	v_lshrrev_b32_e32 v14, 20, v14
	global_load_b64 v[17:18], v13, s[8:9] offset:320
	v_lshlrev_b32_e32 v15, 3, v69
	v_mul_lo_u16 v13, 0x5a, v14
	global_load_b64 v[35:36], v15, s[8:9] offset:320
	v_mul_lo_u16 v15, 0x5a, v71
	v_sub_nc_u16 v13, v57, v13
	s_delay_alu instid0(VALU_DEP_2) | instskip(NEXT) | instid1(VALU_DEP_2)
	v_sub_nc_u16 v14, v56, v15
	v_and_b32_e32 v70, 0xffff, v13
	s_delay_alu instid0(VALU_DEP_2) | instskip(NEXT) | instid1(VALU_DEP_2)
	v_and_b32_e32 v72, 0xffff, v14
	v_lshlrev_b32_e32 v14, 3, v70
	s_delay_alu instid0(VALU_DEP_2)
	v_lshlrev_b32_e32 v13, 3, v72
	s_clause 0x1
	global_load_b64 v[15:16], v13, s[8:9] offset:320
	global_load_b64 v[13:14], v14, s[8:9] offset:320
	ds_load_2addr_b32 v[78:79], v45 offset0:84 offset1:165
	ds_load_2addr_b32 v[80:81], v49 offset0:42 offset1:123
	ds_load_u16 v101, v0 offset:3566
	ds_load_2addr_b32 v[82:83], v44 offset0:76 offset1:157
	ds_load_2addr_b32 v[84:85], v50 offset0:118 offset1:199
	;; [unrolled: 1-line block ×8, first 2 shown]
	ds_load_2addr_b32 v[98:99], v0 offset1:81
	ds_load_2addr_b32 v[33:34], v0 offset0:162 offset1:243
	ds_load_2addr_b32 v[23:24], v48 offset0:68 offset1:149
	;; [unrolled: 1-line block ×4, first 2 shown]
	global_wb scope:SCOPE_SE
	s_wait_loadcnt_dscnt 0x0
	s_barrier_signal -1
	s_barrier_wait -1
	global_inv scope:SCOPE_SE
	v_lshrrev_b32_e32 v102, 16, v79
	v_lshrrev_b32_e32 v103, 16, v80
	;; [unrolled: 1-line block ×15, first 2 shown]
	s_delay_alu instid0(VALU_DEP_3) | instskip(SKIP_1) | instid1(VALU_DEP_4)
	v_mul_f16_e32 v116, v111, v80
	v_mul_f16_e32 v111, v111, v103
	;; [unrolled: 1-line block ×4, first 2 shown]
	s_delay_alu instid0(VALU_DEP_4)
	v_fma_f16 v103, v21, v103, -v116
	v_lshrrev_b32_e32 v116, 16, v26
	v_fmac_f16_e32 v111, v21, v80
	v_fma_f16 v104, v22, v104, -v118
	v_mul_f16_e32 v118, v101, v117
	v_fmac_f16_e32 v113, v22, v78
	v_mul_f16_e32 v80, v102, v116
	v_mul_f16_e32 v21, v117, v81
	;; [unrolled: 1-line block ×3, first 2 shown]
	v_fmac_f16_e32 v118, v25, v81
	v_lshrrev_b32_e32 v116, 16, v32
	v_fmac_f16_e32 v80, v79, v26
	v_lshrrev_b32_e32 v79, 16, v31
	v_fma_f16 v25, v101, v25, -v21
	v_fma_f16 v26, v102, v26, -v22
	v_mul_f16_e32 v102, v84, v116
	v_mul_f16_e32 v116, v106, v116
	;; [unrolled: 1-line block ×4, first 2 shown]
	v_lshrrev_b32_e32 v22, 16, v27
	v_fma_f16 v102, v106, v32, -v102
	v_fmac_f16_e32 v116, v84, v32
	v_fma_f16 v105, v105, v31, -v21
	v_lshrrev_b32_e32 v21, 16, v28
	v_mul_f16_e32 v106, v107, v22
	v_mul_f16_e32 v22, v83, v22
	v_lshrrev_b32_e32 v78, 16, v92
	v_lshrrev_b32_e32 v81, 16, v91
	v_mul_f16_e32 v32, v108, v21
	v_mul_f16_e32 v21, v85, v21
	v_fmac_f16_e32 v106, v83, v27
	v_fma_f16 v27, v107, v27, -v22
	v_lshrrev_b32_e32 v117, 16, v93
	v_fmac_f16_e32 v32, v85, v28
	v_fma_f16 v28, v108, v28, -v21
	v_lshrrev_b32_e32 v84, 16, v37
	v_lshrrev_b32_e32 v85, 16, v38
	v_lshrrev_b32_e32 v101, 16, v94
	v_fmac_f16_e32 v79, v82, v31
	v_lshrrev_b32_e32 v31, 16, v96
	v_mul_f16_e32 v21, v86, v84
	v_mul_f16_e32 v84, v109, v84
	v_lshrrev_b32_e32 v22, 16, v29
	v_mul_f16_e32 v108, v88, v85
	v_mul_f16_e32 v85, v110, v85
	v_fma_f16 v109, v109, v37, -v21
	v_lshrrev_b32_e32 v21, 16, v30
	v_fmac_f16_e32 v84, v86, v37
	v_fma_f16 v108, v110, v38, -v108
	v_mul_f16_e32 v110, v112, v22
	v_fmac_f16_e32 v85, v88, v38
	v_mul_f16_e32 v86, v114, v21
	v_mul_f16_e32 v38, v87, v22
	;; [unrolled: 1-line block ×3, first 2 shown]
	v_fmac_f16_e32 v110, v87, v29
	v_lshrrev_b32_e32 v82, 16, v95
	v_fmac_f16_e32 v86, v89, v30
	v_fma_f16 v29, v112, v29, -v38
	v_fma_f16 v30, v114, v30, -v88
	v_lshrrev_b32_e32 v83, 16, v97
	v_lshrrev_b32_e32 v107, 16, v99
	;; [unrolled: 1-line block ×9, first 2 shown]
	s_delay_alu instid0(VALU_DEP_2) | instskip(NEXT) | instid1(VALU_DEP_2)
	v_mul_f16_e32 v38, v90, v89
	v_mul_f16_e32 v112, v92, v119
	;; [unrolled: 1-line block ×4, first 2 shown]
	s_delay_alu instid0(VALU_DEP_4)
	v_fma_f16 v38, v115, v35, -v38
	v_lshrrev_b32_e32 v115, 16, v18
	v_fma_f16 v78, v78, v36, -v112
	v_mul_f16_e32 v112, v81, v88
	v_fmac_f16_e32 v114, v92, v36
	v_mul_f16_e32 v36, v91, v88
	v_mul_f16_e32 v88, v117, v115
	;; [unrolled: 1-line block ×3, first 2 shown]
	v_fmac_f16_e32 v112, v91, v17
	v_fmac_f16_e32 v89, v90, v35
	v_lshrrev_b32_e32 v91, 16, v15
	v_fmac_f16_e32 v88, v93, v18
	v_lshrrev_b32_e32 v93, 16, v16
	v_lshrrev_b32_e32 v115, 16, v13
	v_fma_f16 v17, v81, v17, -v36
	v_lshrrev_b32_e32 v36, 16, v14
	v_mul_f16_e32 v81, v94, v91
	v_mul_f16_e32 v91, v101, v91
	v_fma_f16 v18, v117, v18, -v92
	v_mul_f16_e32 v92, v96, v93
	v_mul_f16_e32 v93, v31, v93
	;; [unrolled: 1-line block ×4, first 2 shown]
	v_fma_f16 v81, v101, v15, -v81
	v_mul_f16_e32 v101, v83, v36
	v_mul_f16_e32 v36, v97, v36
	v_fmac_f16_e32 v91, v94, v15
	v_add_f16_e32 v15, v118, v80
	v_fma_f16 v31, v31, v16, -v92
	v_fmac_f16_e32 v93, v96, v16
	v_fmac_f16_e32 v117, v95, v13
	;; [unrolled: 1-line block ×3, first 2 shown]
	v_fma_f16 v13, v82, v13, -v115
	v_fma_f16 v14, v83, v14, -v36
	v_add_f16_e32 v16, v99, v118
	v_add_f16_e32 v36, v25, v26
	;; [unrolled: 1-line block ×6, first 2 shown]
	v_fmac_f16_e32 v99, -0.5, v15
	v_add_f16_e32 v15, v105, v102
	v_add_f16_e32 v95, v37, v103
	;; [unrolled: 1-line block ×3, first 2 shown]
	v_sub_f16_e32 v25, v25, v26
	v_sub_f16_e32 v83, v118, v80
	;; [unrolled: 1-line block ×4, first 2 shown]
	v_add_f16_e32 v118, v87, v105
	v_fmac_f16_e32 v107, -0.5, v36
	v_add_f16_e32 v36, v34, v106
	v_add_f16_e32 v94, v94, v113
	;; [unrolled: 1-line block ×3, first 2 shown]
	v_fmac_f16_e32 v37, -0.5, v96
	v_sub_f16_e32 v96, v27, v28
	v_add_f16_e32 v27, v27, v28
	v_add_f16_e32 v16, v16, v80
	v_add_f16_e32 v80, v23, v84
	v_add_f16_e32 v26, v82, v26
	v_add_f16_e32 v82, v84, v85
	v_fmac_f16_e32 v87, -0.5, v15
	v_add_f16_e32 v15, v110, v86
	v_fma_f16 v92, -0.5, v92, v98
	v_add_f16_e32 v111, v33, v79
	v_sub_f16_e32 v79, v79, v116
	v_sub_f16_e32 v105, v105, v102
	v_add_f16_e32 v95, v95, v104
	v_fma_f16 v33, -0.5, v115, v33
	v_lshrrev_b32_e32 v35, 16, v24
	v_add_f16_e32 v104, v106, v32
	v_sub_f16_e32 v106, v106, v32
	v_sub_f16_e32 v84, v84, v85
	v_add_f16_e32 v32, v36, v32
	v_add_f16_e32 v36, v24, v110
	v_fmac_f16_e32 v22, -0.5, v27
	v_add_f16_e32 v27, v80, v85
	v_fmac_f16_e32 v24, -0.5, v15
	v_fma_f16 v15, -0.5, v82, v23
	v_fmamk_f16 v23, v25, 0xbaee, v99
	v_fmac_f16_e32 v99, 0x3aee, v25
	v_fmamk_f16 v25, v83, 0x3aee, v107
	v_fmac_f16_e32 v107, 0xbaee, v83
	v_fmamk_f16 v83, v97, 0xbaee, v92
	v_fmamk_f16 v85, v103, 0x3aee, v37
	v_fmac_f16_e32 v92, 0x3aee, v97
	v_fmac_f16_e32 v37, 0xbaee, v103
	v_add_f16_e32 v111, v111, v116
	v_add_f16_e32 v102, v118, v102
	v_pack_b32_f16 v82, v94, v95
	v_pack_b32_f16 v16, v16, v26
	v_fmamk_f16 v26, v105, 0xbaee, v33
	v_fmamk_f16 v95, v79, 0x3aee, v87
	v_fmac_f16_e32 v34, -0.5, v104
	v_add_f16_e32 v104, v29, v30
	v_add_f16_e32 v28, v113, v28
	v_add_f16_e32 v113, v35, v29
	v_sub_f16_e32 v29, v29, v30
	v_pack_b32_f16 v83, v83, v85
	v_pack_b32_f16 v37, v92, v37
	;; [unrolled: 1-line block ×6, first 2 shown]
	v_lshrrev_b32_e32 v90, 16, v19
	v_fmac_f16_e32 v35, -0.5, v104
	ds_store_2addr_b32 v0, v82, v83 offset1:90
	ds_store_b32 v0, v37 offset:720
	ds_store_2addr_b32 v100, v16, v23 offset1:90
	ds_store_b32 v100, v25 offset:720
	ds_store_2addr_b32 v77, v94, v26 offset1:90
	v_sub_f16_e32 v23, v110, v86
	v_fmamk_f16 v25, v29, 0xbaee, v24
	v_fmac_f16_e32 v24, 0x3aee, v29
	v_add_f16_e32 v29, v89, v114
	v_add_f16_e32 v16, v36, v86
	;; [unrolled: 1-line block ×3, first 2 shown]
	v_fmamk_f16 v36, v23, 0x3aee, v35
	v_fmac_f16_e32 v35, 0xbaee, v23
	v_add_f16_e32 v23, v19, v89
	v_fma_f16 v19, -0.5, v29, v19
	v_sub_f16_e32 v29, v38, v78
	v_add_f16_e32 v37, v90, v38
	v_add_f16_e32 v118, v109, v108
	v_fmac_f16_e32 v90, -0.5, v26
	v_sub_f16_e32 v26, v89, v114
	v_fmamk_f16 v38, v29, 0xbaee, v19
	v_fmac_f16_e32 v19, 0x3aee, v29
	v_add_f16_e32 v29, v37, v78
	v_add_f16_e32 v78, v112, v88
	;; [unrolled: 1-line block ×3, first 2 shown]
	v_fmac_f16_e32 v21, -0.5, v118
	v_fmamk_f16 v37, v26, 0x3aee, v90
	v_fmac_f16_e32 v90, 0xbaee, v26
	v_lshrrev_b32_e32 v26, 16, v20
	v_add_f16_e32 v82, v17, v18
	v_add_f16_e32 v83, v20, v112
	v_fmac_f16_e32 v20, -0.5, v78
	v_sub_f16_e32 v78, v17, v18
	v_sub_f16_e32 v109, v109, v108
	v_fmac_f16_e32 v33, 0x3aee, v105
	v_fmac_f16_e32 v87, 0xbaee, v79
	v_fmamk_f16 v79, v96, 0xbaee, v34
	v_fmac_f16_e32 v34, 0x3aee, v96
	v_fmamk_f16 v96, v106, 0x3aee, v22
	;; [unrolled: 2-line block ×3, first 2 shown]
	v_fmac_f16_e32 v21, 0xbaee, v84
	v_add_f16_e32 v17, v26, v17
	v_fmac_f16_e32 v26, -0.5, v82
	v_sub_f16_e32 v82, v112, v88
	v_fmamk_f16 v84, v78, 0xbaee, v20
	v_fmac_f16_e32 v20, 0x3aee, v78
	v_lshrrev_b32_e32 v78, 16, v11
	v_add_f16_e32 v85, v91, v93
	v_fmamk_f16 v97, v109, 0xbaee, v15
	v_fmac_f16_e32 v15, 0x3aee, v109
	v_pack_b32_f16 v33, v33, v87
	v_pack_b32_f16 v22, v34, v22
	;; [unrolled: 1-line block ×4, first 2 shown]
	v_add_f16_e32 v80, v116, v108
	v_add_f16_e32 v83, v83, v88
	;; [unrolled: 1-line block ×3, first 2 shown]
	v_fmamk_f16 v18, v82, 0x3aee, v26
	v_fmac_f16_e32 v26, 0xbaee, v82
	v_add_f16_e32 v82, v81, v31
	v_add_f16_e32 v86, v11, v91
	;; [unrolled: 1-line block ×3, first 2 shown]
	v_fma_f16 v11, -0.5, v85, v11
	v_sub_f16_e32 v81, v81, v31
	v_add_f16_e32 v30, v113, v30
	ds_store_b32 v77, v33 offset:720
	ds_store_2addr_b32 v73, v28, v32 offset1:90
	v_pack_b32_f16 v15, v15, v21
	ds_store_b32 v73, v22 offset:720
	v_mul_u32_u24_e32 v21, 0x438, v64
	v_lshlrev_b32_e32 v22, 2, v65
	v_fmac_f16_e32 v78, -0.5, v82
	v_add_f16_e32 v82, v86, v93
	v_add_f16_e32 v86, v117, v101
	v_fmamk_f16 v89, v81, 0xbaee, v11
	v_fmac_f16_e32 v11, 0x3aee, v81
	v_lshrrev_b32_e32 v81, 16, v12
	v_add3_u32 v28, 0, v74, v76
	v_pack_b32_f16 v27, v27, v80
	v_pack_b32_f16 v32, v97, v98
	v_add3_u32 v21, 0, v21, v22
	v_pack_b32_f16 v16, v16, v30
	v_pack_b32_f16 v22, v25, v36
	;; [unrolled: 1-line block ×3, first 2 shown]
	v_add_f16_e32 v23, v23, v114
	v_sub_f16_e32 v85, v91, v93
	v_add_f16_e32 v91, v12, v117
	v_fmac_f16_e32 v12, -0.5, v86
	v_sub_f16_e32 v86, v13, v14
	v_add_f16_e32 v92, v81, v13
	v_add_f16_e32 v13, v13, v14
	ds_store_2addr_b32 v28, v27, v32 offset1:90
	ds_store_b32 v28, v15 offset:720
	v_mul_u32_u24_e32 v15, 0x438, v67
	v_lshlrev_b32_e32 v27, 2, v69
	ds_store_2addr_b32 v21, v16, v22 offset1:90
	ds_store_b32 v21, v24 offset:720
	v_mul_u32_u24_e32 v16, 0x438, v66
	v_lshlrev_b32_e32 v21, 2, v68
	v_add_f16_e32 v31, v88, v31
	v_fmamk_f16 v88, v85, 0x3aee, v78
	v_fmac_f16_e32 v78, 0xbaee, v85
	v_fmamk_f16 v85, v86, 0xbaee, v12
	v_fmac_f16_e32 v12, 0x3aee, v86
	v_fmac_f16_e32 v81, -0.5, v13
	v_sub_f16_e32 v86, v117, v101
	v_add3_u32 v15, 0, v15, v27
	v_pack_b32_f16 v23, v23, v29
	v_pack_b32_f16 v25, v38, v37
	;; [unrolled: 1-line block ×3, first 2 shown]
	v_add3_u32 v16, 0, v16, v21
	v_pack_b32_f16 v17, v83, v17
	v_pack_b32_f16 v18, v84, v18
	;; [unrolled: 1-line block ×3, first 2 shown]
	v_add_f16_e32 v14, v92, v14
	v_add_f16_e32 v13, v91, v101
	v_fmamk_f16 v75, v86, 0x3aee, v81
	ds_store_2addr_b32 v15, v23, v25 offset1:90
	v_mul_u32_u24_e32 v22, 0x438, v71
	v_lshlrev_b32_e32 v23, 2, v72
	ds_store_b32 v15, v19 offset:720
	ds_store_2addr_b32 v16, v17, v18 offset1:90
	ds_store_b32 v16, v20 offset:720
	v_lshl_add_u32 v15, v70, 2, 0
	v_fmac_f16_e32 v81, 0xbaee, v86
	v_pack_b32_f16 v11, v11, v78
	v_add3_u32 v21, 0, v22, v23
	v_pack_b32_f16 v22, v82, v31
	v_pack_b32_f16 v23, v89, v88
	;; [unrolled: 1-line block ×4, first 2 shown]
	v_add_nc_u32_e32 v16, 0x2000, v15
	v_pack_b32_f16 v17, v12, v81
	ds_store_2addr_b32 v21, v22, v23 offset1:90
	ds_store_b32 v21, v11 offset:720
	ds_store_2addr_b32 v16, v13, v14 offset0:112 offset1:202
	ds_store_b32 v15, v17 offset:9360
	v_subrev_nc_u32_e32 v13, 27, v1
	v_dual_mov_b32 v12, v8 :: v_dual_lshlrev_b32 v11, 1, v59
	v_mov_b32_e32 v14, v8
	v_mov_b32_e32 v16, v8
	s_wait_alu 0xf1ff
	v_cndmask_b32_e64 v28, v13, v51, s0
	v_lshlrev_b32_e32 v13, 1, v58
	v_lshlrev_b64_e32 v[11:12], 2, v[11:12]
	v_mul_u32_u24_e32 v19, 0x795d, v61
	v_mul_u32_u24_e32 v21, 0x795d, v60
	v_lshlrev_b32_e32 v15, 1, v28
	v_lshlrev_b64_e32 v[17:18], 2, v[13:14]
	global_wb scope:SCOPE_SE
	s_wait_dscnt 0x0
	v_add_co_u32 v13, s0, s8, v11
	s_wait_alu 0xf1ff
	v_add_co_ci_u32_e64 v14, s0, s9, v12, s0
	v_lshlrev_b64_e32 v[15:16], 2, v[15:16]
	v_add_co_u32 v11, s0, s8, v17
	s_wait_alu 0xf1ff
	v_add_co_ci_u32_e64 v12, s0, s9, v18, s0
	v_dual_mov_b32 v18, v8 :: v_dual_add_nc_u32 v17, 0x6c, v7
	v_add_nc_u32_e32 v7, 0x10e, v7
	v_add_co_u32 v15, s0, s8, v15
	s_wait_alu 0xf1ff
	v_add_co_ci_u32_e64 v16, s0, s9, v16, s0
	v_lshlrev_b64_e32 v[17:18], 2, v[17:18]
	v_lshrrev_b32_e32 v24, 23, v19
	v_lshrrev_b32_e32 v21, 23, v21
	s_barrier_signal -1
	s_barrier_wait -1
	global_inv scope:SCOPE_SE
	s_clause 0x3
	global_load_b64 v[19:20], v[9:10], off offset:1040
	global_load_b64 v[31:32], v[13:14], off offset:1040
	;; [unrolled: 1-line block ×4, first 2 shown]
	v_lshlrev_b64_e32 v[15:16], 2, v[7:8]
	v_mul_lo_u16 v7, 0x10e, v24
	v_add_co_u32 v17, s0, s8, v17
	v_mul_u32_u24_e32 v22, 0x795d, v63
	v_mul_lo_u16 v21, 0x10e, v21
	s_wait_alu 0xf1ff
	v_add_co_ci_u32_e64 v18, s0, s9, v18, s0
	v_add_co_u32 v15, s0, s8, v15
	v_sub_nc_u16 v7, v54, v7
	s_wait_alu 0xf1ff
	v_add_co_ci_u32_e64 v16, s0, s9, v16, s0
	v_lshrrev_b32_e32 v22, 23, v22
	v_mul_u32_u24_e32 v23, 0x795d, v62
	v_sub_nc_u16 v21, v55, v21
	v_and_b32_e32 v25, 0xffff, v7
	s_clause 0x1
	global_load_b64 v[37:38], v[17:18], off offset:1040
	global_load_b64 v[58:59], v[15:16], off offset:1040
	v_mul_lo_u16 v17, 0x10e, v22
	v_lshrrev_b32_e32 v18, 23, v23
	v_and_b32_e32 v7, 0xffff, v21
	v_lshlrev_b32_e32 v21, 3, v25
	v_cmp_lt_u32_e64 s0, 26, v1
	v_sub_nc_u16 v16, v56, v17
	v_mul_lo_u16 v17, 0x10e, v18
	v_lshlrev_b32_e32 v15, 3, v7
	s_clause 0x1
	global_load_b64 v[60:61], v21, s[8:9] offset:1040
	global_load_b64 v[62:63], v15, s[8:9] offset:1040
	v_sub_nc_u16 v15, v57, v17
	v_and_b32_e32 v27, 0xffff, v16
	v_lshlrev_b32_e32 v28, 2, v28
	v_mul_u32_u24_e32 v24, 0xca8, v24
	v_lshlrev_b32_e32 v25, 2, v25
	v_and_b32_e32 v26, 0xffff, v15
	v_lshlrev_b32_e32 v15, 3, v27
	s_delay_alu instid0(VALU_DEP_2)
	v_lshlrev_b32_e32 v16, 3, v26
	s_clause 0x1
	global_load_b64 v[64:65], v15, s[8:9] offset:1040
	global_load_b64 v[66:67], v16, s[8:9] offset:1040
	ds_load_2addr_b32 v[68:69], v45 offset0:84 offset1:165
	ds_load_2addr_b32 v[70:71], v49 offset0:42 offset1:123
	;; [unrolled: 1-line block ×8, first 2 shown]
	ds_load_2addr_b32 v[22:23], v0 offset1:81
	ds_load_2addr_b32 v[84:85], v40 offset0:50 offset1:131
	ds_load_2addr_b32 v[86:87], v47 offset0:92 offset1:173
	ds_load_u16 v21, v0 offset:3566
	ds_load_2addr_b32 v[17:18], v0 offset0:162 offset1:243
	ds_load_2addr_b32 v[15:16], v48 offset0:68 offset1:149
	s_wait_dscnt 0xd
	v_lshrrev_b32_e32 v90, 16, v68
	v_lshrrev_b32_e32 v88, 16, v69
	s_wait_dscnt 0xc
	v_lshrrev_b32_e32 v89, 16, v70
	s_wait_dscnt 0xa
	v_lshrrev_b32_e32 v92, 16, v74
	v_lshrrev_b32_e32 v91, 16, v72
	;; [unrolled: 1-line block ×4, first 2 shown]
	s_wait_dscnt 0x9
	v_lshrrev_b32_e32 v95, 16, v76
	s_wait_dscnt 0x8
	v_lshrrev_b32_e32 v96, 16, v78
	v_lshrrev_b32_e32 v97, 16, v77
	s_wait_dscnt 0x7
	v_lshrrev_b32_e32 v99, 16, v80
	s_wait_dscnt 0x6
	v_lshrrev_b32_e32 v100, 16, v82
	v_lshrrev_b32_e32 v101, 16, v81
	;; [unrolled: 1-line block ×4, first 2 shown]
	s_wait_dscnt 0x4
	v_lshrrev_b32_e32 v103, 16, v84
	v_lshrrev_b32_e32 v105, 16, v85
	s_wait_dscnt 0x3
	v_lshrrev_b32_e32 v104, 16, v86
	v_lshrrev_b32_e32 v106, 16, v87
	v_lshrrev_b32_e32 v107, 16, v22
	v_lshrrev_b32_e32 v108, 16, v23
	s_wait_dscnt 0x1
	v_lshrrev_b32_e32 v30, 16, v17
	v_lshrrev_b32_e32 v29, 16, v18
	s_wait_loadcnt 0x9
	v_lshrrev_b32_e32 v110, 16, v20
	s_wait_loadcnt 0x8
	v_lshrrev_b32_e32 v111, 16, v31
	v_lshrrev_b32_e32 v112, 16, v32
	;; [unrolled: 1-line block ×3, first 2 shown]
	s_wait_loadcnt 0x7
	v_lshrrev_b32_e32 v114, 16, v34
	v_mul_f16_e32 v117, v110, v68
	v_mul_f16_e32 v110, v110, v90
	v_lshrrev_b32_e32 v113, 16, v33
	v_mul_f16_e32 v115, v109, v70
	s_wait_loadcnt 0x6
	v_lshrrev_b32_e32 v116, 16, v35
	v_fma_f16 v90, v20, v90, -v117
	v_mul_f16_e32 v117, v21, v111
	v_fmac_f16_e32 v110, v20, v68
	v_mul_f16_e32 v20, v111, v71
	v_mul_f16_e32 v111, v69, v112
	v_mul_f16_e32 v109, v109, v89
	v_mul_f16_e32 v68, v88, v112
	v_fmac_f16_e32 v117, v31, v71
	v_fma_f16 v20, v21, v31, -v20
	v_fma_f16 v31, v88, v32, -v111
	v_mul_f16_e32 v111, v74, v114
	v_mul_f16_e32 v114, v92, v114
	v_fma_f16 v89, v19, v89, -v115
	v_lshrrev_b32_e32 v115, 16, v36
	v_fmac_f16_e32 v109, v19, v70
	s_wait_loadcnt 0x5
	v_lshrrev_b32_e32 v19, 16, v37
	v_lshrrev_b32_e32 v70, 16, v38
	v_fmac_f16_e32 v68, v69, v32
	v_mul_f16_e32 v32, v72, v113
	v_mul_f16_e32 v113, v91, v113
	v_fma_f16 v92, v92, v34, -v111
	v_mul_f16_e32 v111, v93, v116
	v_fmac_f16_e32 v114, v74, v34
	v_mul_f16_e32 v34, v73, v116
	s_wait_loadcnt 0x4
	v_lshrrev_b32_e32 v71, 16, v58
	s_wait_loadcnt 0x3
	v_lshrrev_b32_e32 v112, 16, v60
	v_lshrrev_b32_e32 v21, 16, v61
	s_wait_loadcnt 0x2
	v_lshrrev_b32_e32 v88, 16, v62
	v_fma_f16 v32, v91, v33, -v32
	v_lshrrev_b32_e32 v91, 16, v63
	v_fmac_f16_e32 v113, v72, v33
	v_mul_f16_e32 v72, v94, v115
	v_fmac_f16_e32 v111, v73, v35
	v_mul_f16_e32 v115, v75, v115
	v_mul_f16_e32 v116, v76, v19
	v_fma_f16 v34, v93, v35, -v34
	v_mul_f16_e32 v35, v78, v70
	v_lshrrev_b32_e32 v69, 16, v59
	s_wait_loadcnt 0x1
	v_lshrrev_b32_e32 v33, 16, v64
	s_wait_loadcnt 0x0
	v_lshrrev_b32_e32 v74, 16, v66
	v_fmac_f16_e32 v72, v75, v36
	v_mul_f16_e32 v93, v95, v19
	v_mul_f16_e32 v70, v96, v70
	v_fma_f16 v36, v94, v36, -v115
	v_mul_f16_e32 v94, v97, v71
	v_mul_f16_e32 v19, v77, v71
	v_mul_f16_e32 v115, v80, v112
	v_fma_f16 v95, v95, v37, -v116
	v_mul_f16_e32 v116, v82, v21
	;; [unrolled: 4-line block ×3, first 2 shown]
	v_mul_f16_e32 v21, v81, v88
	v_mul_f16_e32 v35, v83, v91
	v_lshrrev_b32_e32 v73, 16, v65
	v_lshrrev_b32_e32 v75, 16, v67
	v_mul_f16_e32 v71, v98, v69
	v_fmac_f16_e32 v93, v76, v37
	v_mul_f16_e32 v37, v84, v33
	v_fmac_f16_e32 v94, v77, v58
	v_mul_f16_e32 v77, v103, v33
	v_mul_f16_e32 v88, v105, v74
	;; [unrolled: 1-line block ×3, first 2 shown]
	v_fma_f16 v74, v97, v58, -v19
	v_fmac_f16_e32 v112, v80, v60
	v_fmac_f16_e32 v119, v81, v62
	v_fma_f16 v80, v101, v62, -v21
	v_fma_f16 v81, v102, v63, -v35
	v_add_f16_e32 v19, v109, v110
	v_add_f16_e32 v21, v22, v109
	;; [unrolled: 1-line block ×3, first 2 shown]
	v_mul_f16_e32 v69, v79, v69
	v_fmac_f16_e32 v70, v78, v38
	v_mul_f16_e32 v76, v102, v91
	v_mul_f16_e32 v78, v104, v73
	v_fmac_f16_e32 v71, v79, v59
	v_mul_f16_e32 v79, v106, v75
	v_fma_f16 v91, v100, v61, -v116
	v_fmac_f16_e32 v118, v82, v61
	v_fma_f16 v82, v103, v64, -v37
	v_fmac_f16_e32 v77, v84, v64
	v_fma_f16 v84, v105, v66, -v33
	v_sub_f16_e32 v33, v89, v90
	v_fma_f16 v61, -0.5, v19, v22
	v_add_f16_e32 v19, v107, v89
	v_sub_f16_e32 v22, v109, v110
	v_add_f16_e32 v37, v21, v110
	v_fmac_f16_e32 v107, -0.5, v35
	v_add_f16_e32 v21, v117, v68
	v_mul_f16_e32 v38, v86, v73
	v_mul_f16_e32 v73, v87, v75
	v_fmac_f16_e32 v78, v86, v65
	v_fmac_f16_e32 v79, v87, v67
	v_fmamk_f16 v86, v33, 0xbaee, v61
	v_fmac_f16_e32 v61, 0x3aee, v33
	v_fmamk_f16 v87, v22, 0x3aee, v107
	v_add_f16_e32 v33, v23, v117
	v_fmac_f16_e32 v107, 0xbaee, v22
	v_add_f16_e32 v22, v20, v31
	v_fmac_f16_e32 v23, -0.5, v21
	v_sub_f16_e32 v21, v20, v31
	v_add_f16_e32 v20, v108, v20
	v_add_f16_e32 v19, v19, v90
	;; [unrolled: 1-line block ×3, first 2 shown]
	v_fmac_f16_e32 v108, -0.5, v22
	v_sub_f16_e32 v22, v117, v68
	v_add_f16_e32 v31, v20, v31
	v_add_f16_e32 v20, v113, v114
	v_fmamk_f16 v89, v21, 0xbaee, v23
	v_fmac_f16_e32 v23, 0x3aee, v21
	v_fmamk_f16 v90, v22, 0x3aee, v108
	v_add_f16_e32 v21, v17, v113
	v_fmac_f16_e32 v108, 0xbaee, v22
	v_add_f16_e32 v22, v32, v92
	v_fma_f16 v17, -0.5, v20, v17
	v_sub_f16_e32 v20, v32, v92
	v_pack_b32_f16 v37, v37, v19
	v_pack_b32_f16 v31, v35, v31
	v_fmac_f16_e32 v76, v83, v63
	v_fma_f16 v83, v104, v65, -v38
	v_add_f16_e32 v97, v21, v114
	v_add_f16_e32 v33, v30, v32
	v_fmac_f16_e32 v30, -0.5, v22
	v_sub_f16_e32 v38, v113, v114
	v_fmamk_f16 v32, v20, 0xbaee, v17
	v_fmac_f16_e32 v17, 0x3aee, v20
	ds_load_2addr_b32 v[21:22], v39 offset0:102 offset1:183
	ds_load_2addr_b32 v[19:20], v2 offset0:136 offset1:217
	v_add_f16_e32 v35, v111, v72
	global_wb scope:SCOPE_SE
	s_wait_dscnt 0x0
	s_barrier_signal -1
	s_barrier_wait -1
	global_inv scope:SCOPE_SE
	ds_store_2addr_b32 v0, v37, v31 offset1:81
	v_add_f16_e32 v31, v34, v36
	v_add_f16_e32 v37, v18, v111
	;; [unrolled: 1-line block ×3, first 2 shown]
	v_fmamk_f16 v33, v38, 0x3aee, v30
	v_fmac_f16_e32 v30, 0xbaee, v38
	v_fmac_f16_e32 v18, -0.5, v35
	v_sub_f16_e32 v38, v34, v36
	v_add_f16_e32 v58, v29, v34
	v_fmac_f16_e32 v29, -0.5, v31
	v_add_f16_e32 v34, v37, v72
	v_sub_f16_e32 v37, v111, v72
	v_fma_f16 v69, v98, v59, -v69
	v_lshrrev_b32_e32 v31, 16, v15
	v_fmamk_f16 v35, v38, 0xbaee, v18
	v_fmac_f16_e32 v18, 0x3aee, v38
	v_add_f16_e32 v59, v95, v96
	v_add_f16_e32 v36, v58, v36
	v_add_f16_e32 v58, v93, v70
	v_fmamk_f16 v38, v37, 0x3aee, v29
	v_fmac_f16_e32 v29, 0xbaee, v37
	v_add_f16_e32 v37, v15, v93
	v_fma_f16 v75, v99, v60, -v115
	v_fmac_f16_e32 v88, v85, v66
	v_fma_f16 v85, v106, v67, -v73
	v_add_f16_e32 v60, v31, v95
	v_fma_f16 v15, -0.5, v58, v15
	v_sub_f16_e32 v62, v95, v96
	v_fmac_f16_e32 v31, -0.5, v59
	v_add_f16_e32 v58, v37, v70
	v_sub_f16_e32 v64, v93, v70
	v_add_f16_e32 v63, v94, v71
	v_lshrrev_b32_e32 v37, 16, v16
	v_add_f16_e32 v67, v74, v69
	v_fmamk_f16 v59, v62, 0xbaee, v15
	v_fmac_f16_e32 v15, 0x3aee, v62
	v_add_f16_e32 v65, v16, v94
	v_fmac_f16_e32 v16, -0.5, v63
	v_sub_f16_e32 v66, v74, v69
	v_fmamk_f16 v62, v64, 0x3aee, v31
	v_fmac_f16_e32 v31, 0xbaee, v64
	v_add_f16_e32 v64, v37, v74
	v_fmac_f16_e32 v37, -0.5, v67
	v_sub_f16_e32 v67, v94, v71
	v_add_f16_e32 v63, v60, v96
	v_fmamk_f16 v60, v66, 0xbaee, v16
	v_fmac_f16_e32 v16, 0x3aee, v66
	v_add_f16_e32 v66, v64, v69
	v_pack_b32_f16 v68, v61, v107
	v_lshrrev_b32_e32 v61, 16, v21
	v_pack_b32_f16 v23, v23, v108
	v_fmamk_f16 v64, v67, 0x3aee, v37
	v_add_f16_e32 v69, v112, v118
	v_fmac_f16_e32 v37, 0xbaee, v67
	v_add_f16_e32 v67, v75, v91
	ds_store_2addr_b32 v2, v68, v23 offset0:28 offset1:109
	v_add_f16_e32 v68, v21, v112
	v_fma_f16 v23, -0.5, v69, v21
	v_sub_f16_e32 v69, v75, v91
	v_add_f16_e32 v70, v61, v75
	v_fmac_f16_e32 v61, -0.5, v67
	v_sub_f16_e32 v72, v112, v118
	v_add_f16_e32 v65, v65, v71
	v_lshrrev_b32_e32 v21, 16, v22
	v_add_f16_e32 v67, v68, v118
	v_fmamk_f16 v68, v69, 0xbaee, v23
	v_fmac_f16_e32 v23, 0x3aee, v69
	v_add_f16_e32 v69, v119, v76
	v_add_f16_e32 v71, v70, v91
	v_fmamk_f16 v70, v72, 0x3aee, v61
	v_fmac_f16_e32 v61, 0xbaee, v72
	v_add_f16_e32 v72, v80, v81
	v_add_f16_e32 v73, v22, v119
	v_fmac_f16_e32 v22, -0.5, v69
	v_sub_f16_e32 v69, v80, v81
	v_add_f16_e32 v74, v21, v80
	v_fmac_f16_e32 v21, -0.5, v72
	v_sub_f16_e32 v75, v119, v76
	v_add_f16_e32 v72, v73, v76
	v_fmamk_f16 v73, v69, 0xbaee, v22
	v_fmac_f16_e32 v22, 0x3aee, v69
	v_lshrrev_b32_e32 v69, 16, v19
	v_add_f16_e32 v76, v77, v78
	v_fmamk_f16 v80, v75, 0x3aee, v21
	v_fmac_f16_e32 v21, 0xbaee, v75
	v_add_f16_e32 v75, v82, v83
	v_add_f16_e32 v74, v74, v81
	;; [unrolled: 1-line block ×3, first 2 shown]
	v_fma_f16 v19, -0.5, v76, v19
	v_sub_f16_e32 v76, v82, v83
	v_add_f16_e32 v82, v69, v82
	v_fmac_f16_e32 v69, -0.5, v75
	v_sub_f16_e32 v75, v77, v78
	v_add_f16_e32 v77, v81, v78
	v_fmamk_f16 v78, v76, 0xbaee, v19
	v_fmac_f16_e32 v19, 0x3aee, v76
	v_add_f16_e32 v76, v82, v83
	v_fmamk_f16 v81, v75, 0x3aee, v69
	v_add_f16_e32 v82, v88, v79
	v_fmac_f16_e32 v69, 0xbaee, v75
	v_lshrrev_b32_e32 v75, 16, v20
	v_add_f16_e32 v83, v84, v85
	v_add_f16_e32 v91, v20, v88
	v_fmac_f16_e32 v20, -0.5, v82
	v_sub_f16_e32 v82, v84, v85
	v_add_f16_e32 v84, v75, v84
	v_fmac_f16_e32 v75, -0.5, v83
	v_sub_f16_e32 v83, v88, v79
	v_pack_b32_f16 v89, v89, v90
	v_fmamk_f16 v88, v82, 0xbaee, v20
	v_fmac_f16_e32 v20, 0x3aee, v82
	v_add_f16_e32 v82, v84, v85
	v_fmamk_f16 v84, v83, 0x3aee, v75
	v_fmac_f16_e32 v75, 0xbaee, v83
	v_pack_b32_f16 v83, v86, v87
	s_wait_alu 0xf1ff
	v_cndmask_b32_e64 v87, 0, 0xca8, s0
	v_pack_b32_f16 v85, v97, v92
	v_add_nc_u32_e32 v86, 0x200, v0
	v_pack_b32_f16 v32, v32, v33
	v_pack_b32_f16 v17, v17, v30
	v_add3_u32 v28, 0, v87, v28
	v_pack_b32_f16 v30, v34, v36
	v_pack_b32_f16 v33, v35, v38
	;; [unrolled: 1-line block ×3, first 2 shown]
	ds_store_2addr_b32 v86, v85, v83 offset0:34 offset1:142
	ds_store_2addr_b32 v48, v89, v32 offset0:95 offset1:176
	ds_store_b32 v0, v17 offset:2808
	ds_store_b32 v28, v30
	ds_store_b32 v28, v33 offset:1080
	ds_store_b32 v28, v18 offset:2160
	v_pack_b32_f16 v17, v58, v63
	v_pack_b32_f16 v18, v65, v66
	;; [unrolled: 1-line block ×6, first 2 shown]
	ds_store_2addr_b32 v49, v17, v18 offset0:96 offset1:177
	v_pack_b32_f16 v17, v60, v64
	v_add3_u32 v18, 0, v24, v25
	v_pack_b32_f16 v24, v67, v71
	v_pack_b32_f16 v25, v68, v70
	v_add_f16_e32 v79, v91, v79
	ds_store_2addr_b32 v41, v28, v17 offset0:110 offset1:191
	ds_store_2addr_b32 v46, v15, v16 offset0:124 offset1:205
	ds_store_b32 v18, v24
	ds_store_b32 v18, v25 offset:1080
	ds_store_b32 v18, v23 offset:2160
	v_lshl_add_u32 v15, v7, 2, 0
	v_pack_b32_f16 v16, v72, v74
	v_lshlrev_b32_e32 v7, 1, v51
	v_pack_b32_f16 v17, v73, v80
	v_pack_b32_f16 v18, v22, v21
	v_lshl_add_u32 v21, v27, 2, 0
	v_pack_b32_f16 v22, v77, v76
	v_pack_b32_f16 v23, v78, v81
	;; [unrolled: 1-line block ×3, first 2 shown]
	v_lshl_add_u32 v24, v26, 2, 0
	v_pack_b32_f16 v25, v79, v82
	v_pack_b32_f16 v26, v88, v84
	;; [unrolled: 1-line block ×3, first 2 shown]
	ds_store_b32 v15, v16 offset:6480
	ds_store_b32 v15, v17 offset:7560
	;; [unrolled: 1-line block ×9, first 2 shown]
	v_lshlrev_b64_e32 v[15:16], 2, v[7:8]
	v_lshlrev_b32_e32 v7, 1, v53
	global_wb scope:SCOPE_SE
	s_wait_dscnt 0x0
	s_barrier_signal -1
	s_barrier_wait -1
	global_inv scope:SCOPE_SE
	s_clause 0x1
	global_load_b64 v[27:28], v[9:10], off offset:3200
	global_load_b64 v[29:30], v[13:14], off offset:3200
	v_lshlrev_b64_e32 v[9:10], 2, v[7:8]
	v_add_co_u32 v13, s0, s8, v15
	s_wait_alu 0xf1ff
	v_add_co_ci_u32_e64 v14, s0, s9, v16, s0
	v_lshlrev_b32_e32 v7, 1, v52
	s_delay_alu instid0(VALU_DEP_4)
	v_add_co_u32 v9, s0, s8, v9
	s_wait_alu 0xf1ff
	v_add_co_ci_u32_e64 v10, s0, s9, v10, s0
	s_clause 0x2
	global_load_b64 v[31:32], v[11:12], off offset:3200
	global_load_b64 v[33:34], v[13:14], off offset:3200
	;; [unrolled: 1-line block ×3, first 2 shown]
	v_lshlrev_b64_e32 v[9:10], 2, v[7:8]
	v_lshlrev_b32_e32 v7, 1, v54
	s_delay_alu instid0(VALU_DEP_2) | instskip(NEXT) | instid1(VALU_DEP_2)
	v_add_co_u32 v9, s0, s8, v9
	v_lshlrev_b64_e32 v[11:12], 2, v[7:8]
	s_wait_alu 0xf1ff
	s_delay_alu instid0(VALU_DEP_4)
	v_add_co_ci_u32_e64 v10, s0, s9, v10, s0
	v_lshlrev_b32_e32 v7, 1, v55
	global_load_b64 v[37:38], v[9:10], off offset:3200
	v_add_co_u32 v9, s0, s8, v11
	s_wait_alu 0xf1ff
	v_add_co_ci_u32_e64 v10, s0, s9, v12, s0
	v_lshlrev_b64_e32 v[11:12], 2, v[7:8]
	v_lshlrev_b32_e32 v7, 1, v56
	global_load_b64 v[51:52], v[9:10], off offset:3200
	v_add_co_u32 v9, s0, s8, v11
	s_wait_alu 0xf1ff
	v_add_co_ci_u32_e64 v10, s0, s9, v12, s0
	v_lshlrev_b64_e32 v[11:12], 2, v[7:8]
	;; [unrolled: 6-line block ×3, first 2 shown]
	global_load_b64 v[55:56], v[9:10], off offset:3200
	v_add_co_u32 v9, s0, s8, v11
	s_wait_alu 0xf1ff
	v_add_co_ci_u32_e64 v10, s0, s9, v12, s0
	global_load_b64 v[57:58], v[9:10], off offset:3200
	ds_load_2addr_b32 v[17:18], v0 offset1:81
	ds_load_2addr_b32 v[59:60], v45 offset0:84 offset1:165
	ds_load_2addr_b32 v[15:16], v0 offset0:162 offset1:243
	;; [unrolled: 1-line block ×8, first 2 shown]
	ds_load_u16 v79, v0 offset:3566
	ds_load_2addr_b32 v[11:12], v39 offset0:102 offset1:183
	ds_load_2addr_b32 v[71:72], v46 offset0:16 offset1:97
	ds_load_2addr_b32 v[73:74], v42 offset0:58 offset1:139
	ds_load_2addr_b32 v[9:10], v2 offset0:136 offset1:217
	ds_load_2addr_b32 v[75:76], v40 offset0:50 offset1:131
	ds_load_2addr_b32 v[77:78], v47 offset0:92 offset1:173
	global_wb scope:SCOPE_SE
	s_wait_loadcnt_dscnt 0x0
	s_barrier_signal -1
	s_barrier_wait -1
	global_inv scope:SCOPE_SE
	v_lshrrev_b32_e32 v24, 16, v17
	v_lshrrev_b32_e32 v90, 16, v59
	;; [unrolled: 1-line block ×28, first 2 shown]
	s_delay_alu instid0(VALU_DEP_4)
	v_mul_f16_e32 v105, v96, v59
	v_mul_f16_e32 v96, v96, v90
	;; [unrolled: 1-line block ×5, first 2 shown]
	v_fma_f16 v90, v28, v90, -v105
	v_lshrrev_b32_e32 v99, 16, v31
	v_lshrrev_b32_e32 v100, 16, v32
	;; [unrolled: 1-line block ×5, first 2 shown]
	v_mul_f16_e32 v108, v61, v99
	v_mul_f16_e32 v109, v63, v100
	;; [unrolled: 1-line block ×5, first 2 shown]
	v_fmac_f16_e32 v96, v28, v59
	v_lshrrev_b32_e32 v59, 16, v36
	v_mul_f16_e32 v101, v62, v101
	v_mul_f16_e32 v111, v84, v102
	v_fmac_f16_e32 v107, v60, v30
	v_fmac_f16_e32 v99, v61, v31
	;; [unrolled: 1-line block ×4, first 2 shown]
	v_mul_f16_e32 v60, v85, v103
	v_mul_f16_e32 v61, v65, v103
	;; [unrolled: 1-line block ×3, first 2 shown]
	v_lshrrev_b32_e32 v63, 16, v37
	v_fma_f16 v28, v80, v30, -v98
	v_fma_f16 v30, v82, v32, -v109
	v_mul_f16_e32 v32, v64, v102
	v_fmac_f16_e32 v111, v64, v34
	v_fmac_f16_e32 v60, v65, v35
	v_mul_f16_e32 v59, v86, v59
	v_fma_f16 v35, v85, v35, -v61
	v_fma_f16 v61, v86, v36, -v62
	v_lshrrev_b32_e32 v62, 16, v38
	v_mul_f16_e32 v64, v87, v63
	v_mul_f16_e32 v63, v66, v63
	v_fmac_f16_e32 v59, v67, v36
	v_lshrrev_b32_e32 v67, 16, v51
	v_mul_f16_e32 v65, v88, v62
	v_fmac_f16_e32 v64, v66, v37
	v_fma_f16 v37, v87, v37, -v63
	v_mul_f16_e32 v62, v68, v62
	v_lshrrev_b32_e32 v63, 16, v52
	v_mul_f16_e32 v104, v95, v69
	v_mul_f16_e32 v95, v95, v89
	;; [unrolled: 1-line block ×3, first 2 shown]
	v_fmac_f16_e32 v106, v29, v70
	v_fmac_f16_e32 v65, v68, v38
	v_mul_f16_e32 v68, v91, v67
	v_mul_f16_e32 v67, v71, v67
	v_fma_f16 v38, v88, v38, -v62
	v_mul_f16_e32 v62, v92, v63
	v_lshrrev_b32_e32 v70, 16, v53
	v_mul_f16_e32 v63, v73, v63
	v_fma_f16 v89, v27, v89, -v104
	v_fmac_f16_e32 v95, v27, v69
	v_fma_f16 v27, v79, v29, -v97
	v_fma_f16 v29, v81, v31, -v108
	;; [unrolled: 1-line block ×3, first 2 shown]
	v_lshrrev_b32_e32 v33, 16, v75
	v_fmac_f16_e32 v68, v71, v51
	v_fma_f16 v51, v91, v51, -v67
	v_fmac_f16_e32 v62, v73, v52
	v_lshrrev_b32_e32 v67, 16, v54
	v_mul_f16_e32 v71, v93, v70
	v_mul_f16_e32 v70, v72, v70
	v_fma_f16 v52, v92, v52, -v63
	v_lshrrev_b32_e32 v63, 16, v55
	v_fma_f16 v32, v84, v34, -v32
	v_lshrrev_b32_e32 v34, 16, v77
	v_mul_f16_e32 v73, v94, v67
	v_fmac_f16_e32 v71, v72, v53
	v_fma_f16 v53, v93, v53, -v70
	v_mul_f16_e32 v70, v33, v63
	v_lshrrev_b32_e32 v72, 16, v56
	v_mul_f16_e32 v63, v75, v63
	v_mul_f16_e32 v67, v74, v67
	v_lshrrev_b32_e32 v69, 16, v78
	v_fmac_f16_e32 v73, v74, v54
	v_fmac_f16_e32 v70, v75, v55
	v_mul_f16_e32 v74, v34, v72
	v_fma_f16 v33, v33, v55, -v63
	v_mul_f16_e32 v55, v77, v72
	v_lshrrev_b32_e32 v63, 16, v58
	v_lshrrev_b32_e32 v66, 16, v76
	v_fma_f16 v54, v94, v54, -v67
	v_lshrrev_b32_e32 v67, 16, v57
	v_fmac_f16_e32 v74, v77, v56
	v_fma_f16 v34, v34, v56, -v55
	v_mul_f16_e32 v55, v69, v63
	v_mul_f16_e32 v56, v78, v63
	;; [unrolled: 1-line block ×4, first 2 shown]
	v_add_f16_e32 v63, v95, v96
	v_fmac_f16_e32 v55, v78, v58
	v_fma_f16 v56, v69, v58, -v56
	v_add_f16_e32 v58, v89, v90
	v_fmac_f16_e32 v72, v76, v57
	v_fma_f16 v57, v66, v57, -v67
	v_add_f16_e32 v66, v17, v95
	v_fma_f16 v17, -0.5, v63, v17
	v_sub_f16_e32 v63, v89, v90
	v_add_f16_e32 v67, v24, v89
	v_fmac_f16_e32 v24, -0.5, v58
	v_sub_f16_e32 v58, v95, v96
	v_add_f16_e32 v76, v18, v106
	v_fmamk_f16 v69, v63, 0xbaee, v17
	v_fmac_f16_e32 v17, 0x3aee, v63
	v_add_f16_e32 v63, v67, v90
	v_add_f16_e32 v67, v106, v107
	v_fmamk_f16 v75, v58, 0x3aee, v24
	v_fmac_f16_e32 v24, 0xbaee, v58
	v_add_f16_e32 v58, v27, v28
	v_add_f16_e32 v78, v15, v99
	v_fmac_f16_e32 v18, -0.5, v67
	v_sub_f16_e32 v67, v27, v28
	v_add_f16_e32 v27, v23, v27
	v_fmac_f16_e32 v23, -0.5, v58
	v_sub_f16_e32 v58, v106, v107
	v_add_f16_e32 v80, v16, v110
	v_fmamk_f16 v77, v67, 0xbaee, v18
	v_add_f16_e32 v27, v27, v28
	v_add_f16_e32 v28, v99, v100
	v_fmac_f16_e32 v18, 0x3aee, v67
	v_fmamk_f16 v67, v58, 0x3aee, v23
	v_fmac_f16_e32 v23, 0xbaee, v58
	v_add_f16_e32 v58, v29, v30
	v_fma_f16 v15, -0.5, v28, v15
	v_sub_f16_e32 v28, v29, v30
	v_add_f16_e32 v29, v22, v29
	v_add_f16_e32 v82, v13, v60
	v_fmac_f16_e32 v22, -0.5, v58
	v_sub_f16_e32 v58, v99, v100
	v_fmamk_f16 v79, v28, 0xbaee, v15
	v_fmac_f16_e32 v15, 0x3aee, v28
	v_add_f16_e32 v28, v29, v30
	v_add_f16_e32 v29, v110, v111
	v_fmamk_f16 v30, v58, 0x3aee, v22
	v_fmac_f16_e32 v22, 0xbaee, v58
	v_add_f16_e32 v58, v31, v32
	v_add_f16_e32 v82, v82, v59
	v_fmac_f16_e32 v16, -0.5, v29
	v_sub_f16_e32 v29, v31, v32
	v_add_f16_e32 v31, v21, v31
	v_fmac_f16_e32 v21, -0.5, v58
	v_sub_f16_e32 v58, v110, v111
	v_lshrrev_b32_e32 v36, 16, v10
	v_fmamk_f16 v81, v29, 0xbaee, v16
	v_fmac_f16_e32 v16, 0x3aee, v29
	v_add_f16_e32 v29, v31, v32
	v_add_f16_e32 v31, v60, v59
	v_fmamk_f16 v32, v58, 0x3aee, v21
	v_fmac_f16_e32 v21, 0xbaee, v58
	v_add_f16_e32 v58, v35, v61
	v_add_f16_e32 v66, v66, v96
	v_fma_f16 v13, -0.5, v31, v13
	v_sub_f16_e32 v31, v35, v61
	v_add_f16_e32 v35, v19, v35
	v_fmac_f16_e32 v19, -0.5, v58
	v_sub_f16_e32 v58, v60, v59
	v_add_f16_e32 v76, v76, v107
	v_fmamk_f16 v59, v31, 0xbaee, v13
	v_fmac_f16_e32 v13, 0x3aee, v31
	v_add_f16_e32 v31, v35, v61
	v_add_f16_e32 v35, v64, v65
	v_fmamk_f16 v60, v58, 0x3aee, v19
	v_fmac_f16_e32 v19, 0xbaee, v58
	v_add_f16_e32 v58, v37, v38
	v_add_f16_e32 v61, v14, v64
	v_fmac_f16_e32 v14, -0.5, v35
	v_sub_f16_e32 v35, v37, v38
	v_add_f16_e32 v37, v7, v37
	v_fmac_f16_e32 v7, -0.5, v58
	v_sub_f16_e32 v58, v64, v65
	v_add_f16_e32 v61, v61, v65
	v_fmamk_f16 v64, v35, 0xbaee, v14
	v_fmac_f16_e32 v14, 0x3aee, v35
	v_add_f16_e32 v35, v37, v38
	v_add_f16_e32 v37, v68, v62
	v_fmamk_f16 v38, v58, 0x3aee, v7
	v_fmac_f16_e32 v7, 0xbaee, v58
	v_add_f16_e32 v58, v51, v52
	v_add_f16_e32 v65, v11, v68
	v_fma_f16 v11, -0.5, v37, v11
	v_sub_f16_e32 v37, v51, v52
	v_add_f16_e32 v51, v20, v51
	v_fmac_f16_e32 v20, -0.5, v58
	v_sub_f16_e32 v58, v68, v62
	v_add_f16_e32 v65, v65, v62
	v_fmamk_f16 v62, v37, 0xbaee, v11
	v_fmac_f16_e32 v11, 0x3aee, v37
	v_add_f16_e32 v37, v51, v52
	v_add_f16_e32 v51, v71, v73
	v_fmamk_f16 v52, v58, 0x3aee, v20
	v_fmac_f16_e32 v20, 0xbaee, v58
	v_add_f16_e32 v58, v53, v54
	v_add_f16_e32 v68, v12, v71
	v_fmac_f16_e32 v12, -0.5, v51
	v_sub_f16_e32 v51, v53, v54
	v_add_f16_e32 v53, v25, v53
	v_fmac_f16_e32 v25, -0.5, v58
	v_sub_f16_e32 v58, v71, v73
	v_add_f16_e32 v68, v68, v73
	v_fmamk_f16 v71, v51, 0xbaee, v12
	v_fmac_f16_e32 v12, 0x3aee, v51
	v_add_f16_e32 v51, v53, v54
	v_add_f16_e32 v53, v70, v74
	v_fmamk_f16 v54, v58, 0x3aee, v25
	v_fmac_f16_e32 v25, 0xbaee, v58
	v_add_f16_e32 v58, v33, v34
	v_add_f16_e32 v73, v9, v70
	v_fma_f16 v9, -0.5, v53, v9
	v_sub_f16_e32 v53, v33, v34
	v_add_f16_e32 v33, v26, v33
	v_fmac_f16_e32 v26, -0.5, v58
	v_sub_f16_e32 v58, v70, v74
	v_add_f16_e32 v73, v73, v74
	v_fmamk_f16 v70, v53, 0xbaee, v9
	v_add_f16_e32 v33, v33, v34
	v_add_f16_e32 v34, v72, v55
	v_fmac_f16_e32 v9, 0x3aee, v53
	v_fmamk_f16 v53, v58, 0x3aee, v26
	v_fmac_f16_e32 v26, 0xbaee, v58
	v_add_f16_e32 v58, v57, v56
	v_add_f16_e32 v74, v10, v72
	v_fmac_f16_e32 v10, -0.5, v34
	v_sub_f16_e32 v34, v57, v56
	v_add_f16_e32 v57, v36, v57
	v_fmac_f16_e32 v36, -0.5, v58
	v_sub_f16_e32 v58, v72, v55
	v_add_f16_e32 v78, v78, v100
	v_add_f16_e32 v80, v80, v111
	v_fmamk_f16 v72, v34, 0xbaee, v10
	v_fmac_f16_e32 v10, 0x3aee, v34
	v_add_f16_e32 v34, v57, v56
	v_pack_b32_f16 v57, v66, v63
	v_pack_b32_f16 v27, v76, v27
	v_fmamk_f16 v56, v58, 0x3aee, v36
	v_fmac_f16_e32 v36, 0xbaee, v58
	v_pack_b32_f16 v58, v69, v75
	v_pack_b32_f16 v17, v17, v24
	;; [unrolled: 1-line block ×7, first 2 shown]
	ds_store_2addr_b32 v0, v57, v27 offset1:81
	v_pack_b32_f16 v27, v79, v30
	v_pack_b32_f16 v28, v81, v32
	;; [unrolled: 1-line block ×3, first 2 shown]
	ds_store_2addr_b32 v49, v58, v24 offset0:42 offset1:123
	ds_store_2addr_b32 v45, v17, v18 offset0:84 offset1:165
	;; [unrolled: 1-line block ×5, first 2 shown]
	v_pack_b32_f16 v0, v82, v31
	v_pack_b32_f16 v15, v61, v35
	;; [unrolled: 1-line block ×6, first 2 shown]
	ds_store_2addr_b32 v48, v0, v15 offset0:68 offset1:149
	v_pack_b32_f16 v0, v65, v37
	v_pack_b32_f16 v13, v13, v19
	v_add_f16_e32 v55, v74, v55
	ds_store_2addr_b32 v41, v16, v17 offset0:110 offset1:191
	ds_store_2addr_b32 v43, v13, v7 offset0:152 offset1:233
	v_pack_b32_f16 v7, v62, v52
	ds_store_2addr_b32 v39, v0, v14 offset0:102 offset1:183
	v_pack_b32_f16 v0, v71, v54
	v_pack_b32_f16 v11, v11, v20
	;; [unrolled: 1-line block ×9, first 2 shown]
	ds_store_2addr_b32 v46, v7, v0 offset0:16 offset1:97
	ds_store_2addr_b32 v42, v11, v12 offset0:58 offset1:139
	;; [unrolled: 1-line block ×5, first 2 shown]
	global_wb scope:SCOPE_SE
	s_wait_dscnt 0x0
	s_barrier_signal -1
	s_barrier_wait -1
	global_inv scope:SCOPE_SE
	s_and_saveexec_b32 s0, vcc_lo
	s_cbranch_execz .LBB0_21
; %bb.20:
	v_mul_lo_u32 v0, s3, v5
	v_mul_lo_u32 v2, s2, v6
	v_mad_co_u64_u32 v[5:6], null, s2, v5, 0
	v_lshlrev_b64_e32 v[3:4], 2, v[3:4]
	v_add_nc_u32_e32 v7, 0x51, v1
	s_delay_alu instid0(VALU_DEP_3) | instskip(SKIP_2) | instid1(VALU_DEP_4)
	v_add3_u32 v6, v6, v2, v0
	v_mov_b32_e32 v2, v8
	v_lshl_add_u32 v0, v1, 2, 0
	v_lshlrev_b64_e32 v[13:14], 2, v[7:8]
	v_add_nc_u32_e32 v7, 0xa2, v1
	v_lshlrev_b64_e32 v[5:6], 2, v[5:6]
	v_lshlrev_b64_e32 v[11:12], 2, v[1:2]
	ds_load_2addr_b32 v[9:10], v0 offset1:81
	v_add_co_u32 v2, vcc_lo, s6, v5
	s_wait_alu 0xfffd
	v_add_co_ci_u32_e32 v15, vcc_lo, s7, v6, vcc_lo
	v_lshlrev_b64_e32 v[5:6], 2, v[7:8]
	s_delay_alu instid0(VALU_DEP_3) | instskip(SKIP_1) | instid1(VALU_DEP_3)
	v_add_co_u32 v31, vcc_lo, v2, v3
	s_wait_alu 0xfffd
	v_add_co_ci_u32_e32 v32, vcc_lo, v15, v4, vcc_lo
	v_add_nc_u32_e32 v7, 0xf3, v1
	s_delay_alu instid0(VALU_DEP_3) | instskip(SKIP_1) | instid1(VALU_DEP_3)
	v_add_co_u32 v2, vcc_lo, v31, v11
	s_wait_alu 0xfffd
	v_add_co_ci_u32_e32 v3, vcc_lo, v32, v12, vcc_lo
	s_delay_alu instid0(VALU_DEP_3)
	v_lshlrev_b64_e32 v[15:16], 2, v[7:8]
	v_add_nc_u32_e32 v7, 0x144, v1
	v_add_co_u32 v11, vcc_lo, v31, v13
	s_wait_alu 0xfffd
	v_add_co_ci_u32_e32 v12, vcc_lo, v32, v14, vcc_lo
	v_add_co_u32 v4, vcc_lo, v31, v5
	v_lshlrev_b64_e32 v[17:18], 2, v[7:8]
	v_add_nc_u32_e32 v7, 0x195, v1
	s_wait_alu 0xfffd
	v_add_co_ci_u32_e32 v5, vcc_lo, v32, v6, vcc_lo
	v_add_nc_u32_e32 v6, 0x400, v0
	ds_load_2addr_b32 v[13:14], v0 offset0:162 offset1:243
	v_lshlrev_b64_e32 v[21:22], 2, v[7:8]
	v_add_nc_u32_e32 v7, 0x1e6, v1
	v_add_co_u32 v15, vcc_lo, v31, v15
	ds_load_2addr_b32 v[19:20], v6 offset0:68 offset1:149
	v_add_nc_u32_e32 v6, 0x600, v0
	v_lshlrev_b64_e32 v[23:24], 2, v[7:8]
	v_add_nc_u32_e32 v7, 0x237, v1
	s_wait_alu 0xfffd
	v_add_co_ci_u32_e32 v16, vcc_lo, v32, v16, vcc_lo
	ds_load_2addr_b32 v[25:26], v6 offset0:102 offset1:183
	v_add_co_u32 v17, vcc_lo, v31, v17
	v_lshlrev_b64_e32 v[27:28], 2, v[7:8]
	v_add_nc_u32_e32 v7, 0x288, v1
	s_wait_alu 0xfffd
	v_add_co_ci_u32_e32 v18, vcc_lo, v32, v18, vcc_lo
	v_add_co_u32 v21, vcc_lo, v31, v21
	s_wait_alu 0xfffd
	v_add_co_ci_u32_e32 v22, vcc_lo, v32, v22, vcc_lo
	v_add_co_u32 v23, vcc_lo, v31, v23
	v_lshlrev_b64_e32 v[29:30], 2, v[7:8]
	v_add_nc_u32_e32 v7, 0x2d9, v1
	s_wait_alu 0xfffd
	v_add_co_ci_u32_e32 v24, vcc_lo, v32, v24, vcc_lo
	v_add_co_u32 v27, vcc_lo, v31, v27
	s_wait_alu 0xfffd
	v_add_co_ci_u32_e32 v28, vcc_lo, v32, v28, vcc_lo
	s_wait_dscnt 0x3
	s_clause 0x1
	global_store_b32 v[2:3], v9, off
	global_store_b32 v[11:12], v10, off
	s_wait_dscnt 0x2
	s_clause 0x1
	global_store_b32 v[4:5], v13, off
	global_store_b32 v[15:16], v14, off
	;; [unrolled: 4-line block ×4, first 2 shown]
	v_lshlrev_b64_e32 v[4:5], 2, v[7:8]
	v_add_nc_u32_e32 v7, 0x32a, v1
	v_add_nc_u32_e32 v6, 0x800, v0
	v_add_co_u32 v9, vcc_lo, v31, v29
	s_wait_alu 0xfffd
	v_add_co_ci_u32_e32 v10, vcc_lo, v32, v30, vcc_lo
	v_lshlrev_b64_e32 v[11:12], 2, v[7:8]
	v_add_nc_u32_e32 v7, 0x37b, v1
	ds_load_2addr_b32 v[2:3], v6 offset0:136 offset1:217
	v_add_nc_u32_e32 v6, 0xc00, v0
	v_add_co_u32 v4, vcc_lo, v31, v4
	v_lshlrev_b64_e32 v[15:16], 2, v[7:8]
	v_add_nc_u32_e32 v7, 0x3cc, v1
	ds_load_2addr_b32 v[13:14], v6 offset0:42 offset1:123
	v_add_nc_u32_e32 v6, 0xe00, v0
	s_wait_alu 0xfffd
	v_add_co_ci_u32_e32 v5, vcc_lo, v32, v5, vcc_lo
	v_lshlrev_b64_e32 v[17:18], 2, v[7:8]
	v_add_nc_u32_e32 v7, 0x41d, v1
	ds_load_2addr_b32 v[19:20], v6 offset0:76 offset1:157
	v_add_nc_u32_e32 v6, 0x1000, v0
	v_add_co_u32 v11, vcc_lo, v31, v11
	v_lshlrev_b64_e32 v[21:22], 2, v[7:8]
	v_add_nc_u32_e32 v7, 0x46e, v1
	s_wait_alu 0xfffd
	v_add_co_ci_u32_e32 v12, vcc_lo, v32, v12, vcc_lo
	v_add_co_u32 v15, vcc_lo, v31, v15
	s_delay_alu instid0(VALU_DEP_3)
	v_lshlrev_b64_e32 v[23:24], 2, v[7:8]
	v_add_nc_u32_e32 v7, 0x4bf, v1
	ds_load_2addr_b32 v[25:26], v6 offset0:110 offset1:191
	s_wait_alu 0xfffd
	v_add_co_ci_u32_e32 v16, vcc_lo, v32, v16, vcc_lo
	v_add_co_u32 v17, vcc_lo, v31, v17
	v_lshlrev_b64_e32 v[27:28], 2, v[7:8]
	v_add_nc_u32_e32 v7, 0x510, v1
	s_wait_alu 0xfffd
	v_add_co_ci_u32_e32 v18, vcc_lo, v32, v18, vcc_lo
	v_add_co_u32 v21, vcc_lo, v31, v21
	s_wait_alu 0xfffd
	v_add_co_ci_u32_e32 v22, vcc_lo, v32, v22, vcc_lo
	v_add_co_u32 v23, vcc_lo, v31, v23
	v_lshlrev_b64_e32 v[29:30], 2, v[7:8]
	v_add_nc_u32_e32 v7, 0x561, v1
	s_wait_alu 0xfffd
	v_add_co_ci_u32_e32 v24, vcc_lo, v32, v24, vcc_lo
	v_add_co_u32 v27, vcc_lo, v31, v27
	s_wait_alu 0xfffd
	v_add_co_ci_u32_e32 v28, vcc_lo, v32, v28, vcc_lo
	s_wait_dscnt 0x3
	s_clause 0x1
	global_store_b32 v[9:10], v2, off
	global_store_b32 v[4:5], v3, off
	s_wait_dscnt 0x2
	s_clause 0x1
	global_store_b32 v[11:12], v13, off
	global_store_b32 v[15:16], v14, off
	;; [unrolled: 4-line block ×4, first 2 shown]
	v_lshlrev_b64_e32 v[4:5], 2, v[7:8]
	v_add_nc_u32_e32 v7, 0x5b2, v1
	v_add_nc_u32_e32 v6, 0x1400, v0
	v_add_co_u32 v9, vcc_lo, v31, v29
	s_wait_alu 0xfffd
	v_add_co_ci_u32_e32 v10, vcc_lo, v32, v30, vcc_lo
	v_lshlrev_b64_e32 v[11:12], 2, v[7:8]
	v_add_nc_u32_e32 v7, 0x603, v1
	ds_load_2addr_b32 v[2:3], v6 offset0:16 offset1:97
	v_add_nc_u32_e32 v6, 0x1600, v0
	v_add_co_u32 v4, vcc_lo, v31, v4
	v_lshlrev_b64_e32 v[15:16], 2, v[7:8]
	v_add_nc_u32_e32 v7, 0x654, v1
	ds_load_2addr_b32 v[13:14], v6 offset0:50 offset1:131
	v_add_nc_u32_e32 v6, 0x1800, v0
	s_wait_alu 0xfffd
	v_add_co_ci_u32_e32 v5, vcc_lo, v32, v5, vcc_lo
	v_lshlrev_b64_e32 v[17:18], 2, v[7:8]
	v_add_nc_u32_e32 v7, 0x6a5, v1
	ds_load_2addr_b32 v[19:20], v6 offset0:84 offset1:165
	v_add_nc_u32_e32 v6, 0x1a00, v0
	v_add_co_u32 v11, vcc_lo, v31, v11
	v_lshlrev_b64_e32 v[21:22], 2, v[7:8]
	v_add_nc_u32_e32 v7, 0x6f6, v1
	s_wait_alu 0xfffd
	v_add_co_ci_u32_e32 v12, vcc_lo, v32, v12, vcc_lo
	v_add_co_u32 v15, vcc_lo, v31, v15
	s_delay_alu instid0(VALU_DEP_3)
	v_lshlrev_b64_e32 v[23:24], 2, v[7:8]
	v_add_nc_u32_e32 v7, 0x747, v1
	ds_load_2addr_b32 v[25:26], v6 offset0:118 offset1:199
	s_wait_alu 0xfffd
	v_add_co_ci_u32_e32 v16, vcc_lo, v32, v16, vcc_lo
	v_add_co_u32 v17, vcc_lo, v31, v17
	v_lshlrev_b64_e32 v[27:28], 2, v[7:8]
	v_add_nc_u32_e32 v7, 0x798, v1
	s_wait_alu 0xfffd
	v_add_co_ci_u32_e32 v18, vcc_lo, v32, v18, vcc_lo
	v_add_co_u32 v21, vcc_lo, v31, v21
	s_wait_alu 0xfffd
	v_add_co_ci_u32_e32 v22, vcc_lo, v32, v22, vcc_lo
	v_add_co_u32 v23, vcc_lo, v31, v23
	v_lshlrev_b64_e32 v[29:30], 2, v[7:8]
	v_add_nc_u32_e32 v7, 0x7e9, v1
	s_wait_alu 0xfffd
	v_add_co_ci_u32_e32 v24, vcc_lo, v32, v24, vcc_lo
	v_add_co_u32 v27, vcc_lo, v31, v27
	s_wait_alu 0xfffd
	v_add_co_ci_u32_e32 v28, vcc_lo, v32, v28, vcc_lo
	v_add_nc_u32_e32 v6, 0x1c00, v0
	s_wait_dscnt 0x3
	s_clause 0x1
	global_store_b32 v[9:10], v2, off
	global_store_b32 v[4:5], v3, off
	s_wait_dscnt 0x2
	s_clause 0x1
	global_store_b32 v[11:12], v13, off
	global_store_b32 v[15:16], v14, off
	;; [unrolled: 4-line block ×4, first 2 shown]
	v_lshlrev_b64_e32 v[4:5], 2, v[7:8]
	v_add_nc_u32_e32 v7, 0x83a, v1
	v_add_co_u32 v9, vcc_lo, v31, v29
	ds_load_2addr_b32 v[2:3], v6 offset0:152 offset1:233
	v_add_nc_u32_e32 v6, 0x2000, v0
	v_lshlrev_b64_e32 v[11:12], 2, v[7:8]
	v_add_nc_u32_e32 v7, 0x88b, v1
	v_add_nc_u32_e32 v0, 0x2200, v0
	s_wait_alu 0xfffd
	v_add_co_ci_u32_e32 v10, vcc_lo, v32, v30, vcc_lo
	ds_load_2addr_b32 v[13:14], v6 offset0:58 offset1:139
	v_lshlrev_b64_e32 v[15:16], 2, v[7:8]
	v_add_nc_u32_e32 v7, 0x8dc, v1
	ds_load_2addr_b32 v[17:18], v0 offset0:92 offset1:173
	v_add_co_u32 v4, vcc_lo, v31, v4
	s_wait_alu 0xfffd
	v_add_co_ci_u32_e32 v5, vcc_lo, v32, v5, vcc_lo
	v_lshlrev_b64_e32 v[19:20], 2, v[7:8]
	v_add_nc_u32_e32 v7, 0x92d, v1
	v_add_co_u32 v11, vcc_lo, v31, v11
	s_wait_alu 0xfffd
	v_add_co_ci_u32_e32 v12, vcc_lo, v32, v12, vcc_lo
	v_add_co_u32 v0, vcc_lo, v31, v15
	v_lshlrev_b64_e32 v[6:7], 2, v[7:8]
	s_wait_alu 0xfffd
	v_add_co_ci_u32_e32 v1, vcc_lo, v32, v16, vcc_lo
	v_add_co_u32 v15, vcc_lo, v31, v19
	s_wait_alu 0xfffd
	v_add_co_ci_u32_e32 v16, vcc_lo, v32, v20, vcc_lo
	v_add_co_u32 v6, vcc_lo, v31, v6
	s_wait_alu 0xfffd
	v_add_co_ci_u32_e32 v7, vcc_lo, v32, v7, vcc_lo
	s_wait_dscnt 0x2
	s_clause 0x1
	global_store_b32 v[9:10], v2, off
	global_store_b32 v[4:5], v3, off
	s_wait_dscnt 0x1
	s_clause 0x1
	global_store_b32 v[11:12], v13, off
	global_store_b32 v[0:1], v14, off
	;; [unrolled: 4-line block ×3, first 2 shown]
.LBB0_21:
	s_nop 0
	s_sendmsg sendmsg(MSG_DEALLOC_VGPRS)
	s_endpgm
	.section	.rodata,"a",@progbits
	.p2align	6, 0x0
	.amdhsa_kernel fft_rtc_back_len2430_factors_10_3_3_3_3_3_wgs_81_tpt_81_halfLds_half_op_CI_CI_unitstride_sbrr_C2R_dirReg
		.amdhsa_group_segment_fixed_size 0
		.amdhsa_private_segment_fixed_size 0
		.amdhsa_kernarg_size 104
		.amdhsa_user_sgpr_count 2
		.amdhsa_user_sgpr_dispatch_ptr 0
		.amdhsa_user_sgpr_queue_ptr 0
		.amdhsa_user_sgpr_kernarg_segment_ptr 1
		.amdhsa_user_sgpr_dispatch_id 0
		.amdhsa_user_sgpr_private_segment_size 0
		.amdhsa_wavefront_size32 1
		.amdhsa_uses_dynamic_stack 0
		.amdhsa_enable_private_segment 0
		.amdhsa_system_sgpr_workgroup_id_x 1
		.amdhsa_system_sgpr_workgroup_id_y 0
		.amdhsa_system_sgpr_workgroup_id_z 0
		.amdhsa_system_sgpr_workgroup_info 0
		.amdhsa_system_vgpr_workitem_id 0
		.amdhsa_next_free_vgpr 132
		.amdhsa_next_free_sgpr 39
		.amdhsa_reserve_vcc 1
		.amdhsa_float_round_mode_32 0
		.amdhsa_float_round_mode_16_64 0
		.amdhsa_float_denorm_mode_32 3
		.amdhsa_float_denorm_mode_16_64 3
		.amdhsa_fp16_overflow 0
		.amdhsa_workgroup_processor_mode 1
		.amdhsa_memory_ordered 1
		.amdhsa_forward_progress 0
		.amdhsa_round_robin_scheduling 0
		.amdhsa_exception_fp_ieee_invalid_op 0
		.amdhsa_exception_fp_denorm_src 0
		.amdhsa_exception_fp_ieee_div_zero 0
		.amdhsa_exception_fp_ieee_overflow 0
		.amdhsa_exception_fp_ieee_underflow 0
		.amdhsa_exception_fp_ieee_inexact 0
		.amdhsa_exception_int_div_zero 0
	.end_amdhsa_kernel
	.text
.Lfunc_end0:
	.size	fft_rtc_back_len2430_factors_10_3_3_3_3_3_wgs_81_tpt_81_halfLds_half_op_CI_CI_unitstride_sbrr_C2R_dirReg, .Lfunc_end0-fft_rtc_back_len2430_factors_10_3_3_3_3_3_wgs_81_tpt_81_halfLds_half_op_CI_CI_unitstride_sbrr_C2R_dirReg
                                        ; -- End function
	.section	.AMDGPU.csdata,"",@progbits
; Kernel info:
; codeLenInByte = 23412
; NumSgprs: 41
; NumVgprs: 132
; ScratchSize: 0
; MemoryBound: 0
; FloatMode: 240
; IeeeMode: 1
; LDSByteSize: 0 bytes/workgroup (compile time only)
; SGPRBlocks: 5
; VGPRBlocks: 16
; NumSGPRsForWavesPerEU: 41
; NumVGPRsForWavesPerEU: 132
; Occupancy: 10
; WaveLimiterHint : 1
; COMPUTE_PGM_RSRC2:SCRATCH_EN: 0
; COMPUTE_PGM_RSRC2:USER_SGPR: 2
; COMPUTE_PGM_RSRC2:TRAP_HANDLER: 0
; COMPUTE_PGM_RSRC2:TGID_X_EN: 1
; COMPUTE_PGM_RSRC2:TGID_Y_EN: 0
; COMPUTE_PGM_RSRC2:TGID_Z_EN: 0
; COMPUTE_PGM_RSRC2:TIDIG_COMP_CNT: 0
	.text
	.p2alignl 7, 3214868480
	.fill 96, 4, 3214868480
	.type	__hip_cuid_ca6a22b98204849f,@object ; @__hip_cuid_ca6a22b98204849f
	.section	.bss,"aw",@nobits
	.globl	__hip_cuid_ca6a22b98204849f
__hip_cuid_ca6a22b98204849f:
	.byte	0                               ; 0x0
	.size	__hip_cuid_ca6a22b98204849f, 1

	.ident	"AMD clang version 19.0.0git (https://github.com/RadeonOpenCompute/llvm-project roc-6.4.0 25133 c7fe45cf4b819c5991fe208aaa96edf142730f1d)"
	.section	".note.GNU-stack","",@progbits
	.addrsig
	.addrsig_sym __hip_cuid_ca6a22b98204849f
	.amdgpu_metadata
---
amdhsa.kernels:
  - .args:
      - .actual_access:  read_only
        .address_space:  global
        .offset:         0
        .size:           8
        .value_kind:     global_buffer
      - .offset:         8
        .size:           8
        .value_kind:     by_value
      - .actual_access:  read_only
        .address_space:  global
        .offset:         16
        .size:           8
        .value_kind:     global_buffer
      - .actual_access:  read_only
        .address_space:  global
        .offset:         24
        .size:           8
        .value_kind:     global_buffer
      - .actual_access:  read_only
        .address_space:  global
        .offset:         32
        .size:           8
        .value_kind:     global_buffer
      - .offset:         40
        .size:           8
        .value_kind:     by_value
      - .actual_access:  read_only
        .address_space:  global
        .offset:         48
        .size:           8
        .value_kind:     global_buffer
      - .actual_access:  read_only
        .address_space:  global
        .offset:         56
        .size:           8
        .value_kind:     global_buffer
      - .offset:         64
        .size:           4
        .value_kind:     by_value
      - .actual_access:  read_only
        .address_space:  global
        .offset:         72
        .size:           8
        .value_kind:     global_buffer
      - .actual_access:  read_only
        .address_space:  global
        .offset:         80
        .size:           8
        .value_kind:     global_buffer
      - .actual_access:  read_only
        .address_space:  global
        .offset:         88
        .size:           8
        .value_kind:     global_buffer
      - .actual_access:  write_only
        .address_space:  global
        .offset:         96
        .size:           8
        .value_kind:     global_buffer
    .group_segment_fixed_size: 0
    .kernarg_segment_align: 8
    .kernarg_segment_size: 104
    .language:       OpenCL C
    .language_version:
      - 2
      - 0
    .max_flat_workgroup_size: 81
    .name:           fft_rtc_back_len2430_factors_10_3_3_3_3_3_wgs_81_tpt_81_halfLds_half_op_CI_CI_unitstride_sbrr_C2R_dirReg
    .private_segment_fixed_size: 0
    .sgpr_count:     41
    .sgpr_spill_count: 0
    .symbol:         fft_rtc_back_len2430_factors_10_3_3_3_3_3_wgs_81_tpt_81_halfLds_half_op_CI_CI_unitstride_sbrr_C2R_dirReg.kd
    .uniform_work_group_size: 1
    .uses_dynamic_stack: false
    .vgpr_count:     132
    .vgpr_spill_count: 0
    .wavefront_size: 32
    .workgroup_processor_mode: 1
amdhsa.target:   amdgcn-amd-amdhsa--gfx1201
amdhsa.version:
  - 1
  - 2
...

	.end_amdgpu_metadata
